;; amdgpu-corpus repo=LLNL/RAJAPerf kind=compiled arch=gfx90a opt=O3
	.text
	.amdgcn_target "amdgcn-amd-amdhsa--gfx90a"
	.amdhsa_code_object_version 6
	.section	.text._ZN7rocprim6detail31init_lookback_scan_state_kernelINS0_19lookback_scan_stateIdLb1ELb1EEEEEvT_jjPNS4_10value_typeE,"axG",@progbits,_ZN7rocprim6detail31init_lookback_scan_state_kernelINS0_19lookback_scan_stateIdLb1ELb1EEEEEvT_jjPNS4_10value_typeE,comdat
	.protected	_ZN7rocprim6detail31init_lookback_scan_state_kernelINS0_19lookback_scan_stateIdLb1ELb1EEEEEvT_jjPNS4_10value_typeE ; -- Begin function _ZN7rocprim6detail31init_lookback_scan_state_kernelINS0_19lookback_scan_stateIdLb1ELb1EEEEEvT_jjPNS4_10value_typeE
	.globl	_ZN7rocprim6detail31init_lookback_scan_state_kernelINS0_19lookback_scan_stateIdLb1ELb1EEEEEvT_jjPNS4_10value_typeE
	.p2align	8
	.type	_ZN7rocprim6detail31init_lookback_scan_state_kernelINS0_19lookback_scan_stateIdLb1ELb1EEEEEvT_jjPNS4_10value_typeE,@function
_ZN7rocprim6detail31init_lookback_scan_state_kernelINS0_19lookback_scan_stateIdLb1ELb1EEEEEvT_jjPNS4_10value_typeE: ; @_ZN7rocprim6detail31init_lookback_scan_state_kernelINS0_19lookback_scan_stateIdLb1ELb1EEEEEvT_jjPNS4_10value_typeE
; %bb.0:
	s_load_dword s7, s[4:5], 0x24
	s_load_dwordx2 s[8:9], s[4:5], 0x10
	s_load_dwordx4 s[0:3], s[4:5], 0x0
	s_waitcnt lgkmcnt(0)
	s_and_b32 s4, s7, 0xffff
	s_mul_i32 s6, s6, s4
	s_cmp_eq_u64 s[8:9], 0
	v_add_u32_e32 v0, s6, v0
	s_cbranch_scc1 .LBB0_10
; %bb.1:
	s_cmp_lt_u32 s3, s2
	s_cselect_b32 s4, s3, 0
	s_mov_b32 s7, 0
	v_cmp_eq_u32_e32 vcc, s4, v0
	s_and_saveexec_b64 s[4:5], vcc
	s_cbranch_execz .LBB0_9
; %bb.2:
	s_add_i32 s6, s3, 64
	s_lshl_b64 s[6:7], s[6:7], 4
	s_add_u32 s12, s0, s6
	s_addc_u32 s13, s1, s7
	v_pk_mov_b32 v[2:3], s[12:13], s[12:13] op_sel:[0,1]
	;;#ASMSTART
	global_load_dwordx4 v[2:5], v[2:3] off glc	
s_waitcnt vmcnt(0)
	;;#ASMEND
	v_mov_b32_e32 v7, 0
	v_and_b32_e32 v6, 0xff, v4
	s_mov_b64 s[10:11], 0
	v_cmp_eq_u64_e32 vcc, 0, v[6:7]
	s_and_saveexec_b64 s[6:7], vcc
	s_cbranch_execz .LBB0_8
; %bb.3:
	s_mov_b32 s3, 1
	v_pk_mov_b32 v[8:9], s[12:13], s[12:13] op_sel:[0,1]
.LBB0_4:                                ; =>This Loop Header: Depth=1
                                        ;     Child Loop BB0_5 Depth 2
	s_max_u32 s12, s3, 1
.LBB0_5:                                ;   Parent Loop BB0_4 Depth=1
                                        ; =>  This Inner Loop Header: Depth=2
	s_add_i32 s12, s12, -1
	s_cmp_eq_u32 s12, 0
	s_sleep 1
	s_cbranch_scc0 .LBB0_5
; %bb.6:                                ;   in Loop: Header=BB0_4 Depth=1
	s_cmp_lt_u32 s3, 32
	s_cselect_b64 s[12:13], -1, 0
	s_cmp_lg_u64 s[12:13], 0
	;;#ASMSTART
	global_load_dwordx4 v[2:5], v[8:9] off glc	
s_waitcnt vmcnt(0)
	;;#ASMEND
	v_and_b32_e32 v6, 0xff, v4
	s_addc_u32 s3, s3, 0
	v_cmp_ne_u64_e32 vcc, 0, v[6:7]
	s_or_b64 s[10:11], vcc, s[10:11]
	s_andn2_b64 exec, exec, s[10:11]
	s_cbranch_execnz .LBB0_4
; %bb.7:
	s_or_b64 exec, exec, s[10:11]
.LBB0_8:
	s_or_b64 exec, exec, s[6:7]
	v_mov_b32_e32 v1, 0
	global_store_dwordx2 v1, v[2:3], s[8:9]
.LBB0_9:
	s_or_b64 exec, exec, s[4:5]
.LBB0_10:
	v_cmp_gt_u32_e32 vcc, s2, v0
	s_and_saveexec_b64 s[2:3], vcc
	s_cbranch_execnz .LBB0_13
; %bb.11:
	s_or_b64 exec, exec, s[2:3]
	v_cmp_gt_u32_e32 vcc, 64, v0
	s_and_saveexec_b64 s[2:3], vcc
	s_cbranch_execnz .LBB0_14
.LBB0_12:
	s_endpgm
.LBB0_13:
	v_add_u32_e32 v2, 64, v0
	v_mov_b32_e32 v3, 0
	v_lshlrev_b64 v[4:5], 4, v[2:3]
	v_mov_b32_e32 v1, s1
	v_add_co_u32_e32 v6, vcc, s0, v4
	v_addc_co_u32_e32 v7, vcc, v1, v5, vcc
	v_mov_b32_e32 v2, v3
	v_mov_b32_e32 v4, v3
	;; [unrolled: 1-line block ×3, first 2 shown]
	global_store_dwordx4 v[6:7], v[2:5], off
	s_or_b64 exec, exec, s[2:3]
	v_cmp_gt_u32_e32 vcc, 64, v0
	s_and_saveexec_b64 s[2:3], vcc
	s_cbranch_execz .LBB0_12
.LBB0_14:
	v_mov_b32_e32 v1, 0
	v_lshlrev_b64 v[2:3], 4, v[0:1]
	v_mov_b32_e32 v0, s1
	v_add_co_u32_e32 v4, vcc, s0, v2
	v_addc_co_u32_e32 v5, vcc, v0, v3, vcc
	v_mov_b32_e32 v2, 0xff
	v_mov_b32_e32 v0, v1
	;; [unrolled: 1-line block ×3, first 2 shown]
	global_store_dwordx4 v[4:5], v[0:3], off
	s_endpgm
	.section	.rodata,"a",@progbits
	.p2align	6, 0x0
	.amdhsa_kernel _ZN7rocprim6detail31init_lookback_scan_state_kernelINS0_19lookback_scan_stateIdLb1ELb1EEEEEvT_jjPNS4_10value_typeE
		.amdhsa_group_segment_fixed_size 0
		.amdhsa_private_segment_fixed_size 0
		.amdhsa_kernarg_size 280
		.amdhsa_user_sgpr_count 6
		.amdhsa_user_sgpr_private_segment_buffer 1
		.amdhsa_user_sgpr_dispatch_ptr 0
		.amdhsa_user_sgpr_queue_ptr 0
		.amdhsa_user_sgpr_kernarg_segment_ptr 1
		.amdhsa_user_sgpr_dispatch_id 0
		.amdhsa_user_sgpr_flat_scratch_init 0
		.amdhsa_user_sgpr_kernarg_preload_length 0
		.amdhsa_user_sgpr_kernarg_preload_offset 0
		.amdhsa_user_sgpr_private_segment_size 0
		.amdhsa_uses_dynamic_stack 0
		.amdhsa_system_sgpr_private_segment_wavefront_offset 0
		.amdhsa_system_sgpr_workgroup_id_x 1
		.amdhsa_system_sgpr_workgroup_id_y 0
		.amdhsa_system_sgpr_workgroup_id_z 0
		.amdhsa_system_sgpr_workgroup_info 0
		.amdhsa_system_vgpr_workitem_id 0
		.amdhsa_next_free_vgpr 10
		.amdhsa_next_free_sgpr 14
		.amdhsa_accum_offset 12
		.amdhsa_reserve_vcc 1
		.amdhsa_reserve_flat_scratch 0
		.amdhsa_float_round_mode_32 0
		.amdhsa_float_round_mode_16_64 0
		.amdhsa_float_denorm_mode_32 3
		.amdhsa_float_denorm_mode_16_64 3
		.amdhsa_dx10_clamp 1
		.amdhsa_ieee_mode 1
		.amdhsa_fp16_overflow 0
		.amdhsa_tg_split 0
		.amdhsa_exception_fp_ieee_invalid_op 0
		.amdhsa_exception_fp_denorm_src 0
		.amdhsa_exception_fp_ieee_div_zero 0
		.amdhsa_exception_fp_ieee_overflow 0
		.amdhsa_exception_fp_ieee_underflow 0
		.amdhsa_exception_fp_ieee_inexact 0
		.amdhsa_exception_int_div_zero 0
	.end_amdhsa_kernel
	.section	.text._ZN7rocprim6detail31init_lookback_scan_state_kernelINS0_19lookback_scan_stateIdLb1ELb1EEEEEvT_jjPNS4_10value_typeE,"axG",@progbits,_ZN7rocprim6detail31init_lookback_scan_state_kernelINS0_19lookback_scan_stateIdLb1ELb1EEEEEvT_jjPNS4_10value_typeE,comdat
.Lfunc_end0:
	.size	_ZN7rocprim6detail31init_lookback_scan_state_kernelINS0_19lookback_scan_stateIdLb1ELb1EEEEEvT_jjPNS4_10value_typeE, .Lfunc_end0-_ZN7rocprim6detail31init_lookback_scan_state_kernelINS0_19lookback_scan_stateIdLb1ELb1EEEEEvT_jjPNS4_10value_typeE
                                        ; -- End function
	.section	.AMDGPU.csdata,"",@progbits
; Kernel info:
; codeLenInByte = 404
; NumSgprs: 18
; NumVgprs: 10
; NumAgprs: 0
; TotalNumVgprs: 10
; ScratchSize: 0
; MemoryBound: 0
; FloatMode: 240
; IeeeMode: 1
; LDSByteSize: 0 bytes/workgroup (compile time only)
; SGPRBlocks: 2
; VGPRBlocks: 1
; NumSGPRsForWavesPerEU: 18
; NumVGPRsForWavesPerEU: 10
; AccumOffset: 12
; Occupancy: 8
; WaveLimiterHint : 0
; COMPUTE_PGM_RSRC2:SCRATCH_EN: 0
; COMPUTE_PGM_RSRC2:USER_SGPR: 6
; COMPUTE_PGM_RSRC2:TRAP_HANDLER: 0
; COMPUTE_PGM_RSRC2:TGID_X_EN: 1
; COMPUTE_PGM_RSRC2:TGID_Y_EN: 0
; COMPUTE_PGM_RSRC2:TGID_Z_EN: 0
; COMPUTE_PGM_RSRC2:TIDIG_COMP_CNT: 0
; COMPUTE_PGM_RSRC3_GFX90A:ACCUM_OFFSET: 2
; COMPUTE_PGM_RSRC3_GFX90A:TG_SPLIT: 0
	.section	.text._ZN7rocprim6detail31init_lookback_scan_state_kernelINS0_19lookback_scan_stateIdLb0ELb1EEEEEvT_jjPNS4_10value_typeE,"axG",@progbits,_ZN7rocprim6detail31init_lookback_scan_state_kernelINS0_19lookback_scan_stateIdLb0ELb1EEEEEvT_jjPNS4_10value_typeE,comdat
	.protected	_ZN7rocprim6detail31init_lookback_scan_state_kernelINS0_19lookback_scan_stateIdLb0ELb1EEEEEvT_jjPNS4_10value_typeE ; -- Begin function _ZN7rocprim6detail31init_lookback_scan_state_kernelINS0_19lookback_scan_stateIdLb0ELb1EEEEEvT_jjPNS4_10value_typeE
	.globl	_ZN7rocprim6detail31init_lookback_scan_state_kernelINS0_19lookback_scan_stateIdLb0ELb1EEEEEvT_jjPNS4_10value_typeE
	.p2align	8
	.type	_ZN7rocprim6detail31init_lookback_scan_state_kernelINS0_19lookback_scan_stateIdLb0ELb1EEEEEvT_jjPNS4_10value_typeE,@function
_ZN7rocprim6detail31init_lookback_scan_state_kernelINS0_19lookback_scan_stateIdLb0ELb1EEEEEvT_jjPNS4_10value_typeE: ; @_ZN7rocprim6detail31init_lookback_scan_state_kernelINS0_19lookback_scan_stateIdLb0ELb1EEEEEvT_jjPNS4_10value_typeE
; %bb.0:
	s_load_dword s7, s[4:5], 0x24
	s_load_dwordx2 s[8:9], s[4:5], 0x10
	s_load_dwordx4 s[0:3], s[4:5], 0x0
	s_waitcnt lgkmcnt(0)
	s_and_b32 s4, s7, 0xffff
	s_mul_i32 s6, s6, s4
	s_cmp_eq_u64 s[8:9], 0
	v_add_u32_e32 v0, s6, v0
	s_cbranch_scc1 .LBB1_8
; %bb.1:
	s_cmp_lt_u32 s3, s2
	s_cselect_b32 s4, s3, 0
	s_mov_b32 s7, 0
	v_cmp_eq_u32_e32 vcc, s4, v0
	s_and_saveexec_b64 s[4:5], vcc
	s_cbranch_execz .LBB1_7
; %bb.2:
	s_add_i32 s6, s3, 64
	s_lshl_b64 s[6:7], s[6:7], 4
	s_add_u32 s12, s0, s6
	s_addc_u32 s13, s1, s7
	v_pk_mov_b32 v[2:3], s[12:13], s[12:13] op_sel:[0,1]
	;;#ASMSTART
	global_load_dwordx4 v[2:5], v[2:3] off glc	
s_waitcnt vmcnt(0)
	;;#ASMEND
	v_mov_b32_e32 v7, 0
	v_and_b32_e32 v6, 0xff, v4
	s_mov_b64 s[10:11], 0
	v_cmp_eq_u64_e32 vcc, 0, v[6:7]
	s_and_saveexec_b64 s[6:7], vcc
	s_cbranch_execz .LBB1_6
; %bb.3:
	v_pk_mov_b32 v[8:9], s[12:13], s[12:13] op_sel:[0,1]
.LBB1_4:                                ; =>This Inner Loop Header: Depth=1
	;;#ASMSTART
	global_load_dwordx4 v[2:5], v[8:9] off glc	
s_waitcnt vmcnt(0)
	;;#ASMEND
	v_and_b32_e32 v6, 0xff, v4
	v_cmp_ne_u64_e32 vcc, 0, v[6:7]
	s_or_b64 s[10:11], vcc, s[10:11]
	s_andn2_b64 exec, exec, s[10:11]
	s_cbranch_execnz .LBB1_4
; %bb.5:
	s_or_b64 exec, exec, s[10:11]
.LBB1_6:
	s_or_b64 exec, exec, s[6:7]
	v_mov_b32_e32 v1, 0
	global_store_dwordx2 v1, v[2:3], s[8:9]
.LBB1_7:
	s_or_b64 exec, exec, s[4:5]
.LBB1_8:
	v_cmp_gt_u32_e32 vcc, s2, v0
	s_and_saveexec_b64 s[2:3], vcc
	s_cbranch_execnz .LBB1_11
; %bb.9:
	s_or_b64 exec, exec, s[2:3]
	v_cmp_gt_u32_e32 vcc, 64, v0
	s_and_saveexec_b64 s[2:3], vcc
	s_cbranch_execnz .LBB1_12
.LBB1_10:
	s_endpgm
.LBB1_11:
	v_add_u32_e32 v2, 64, v0
	v_mov_b32_e32 v3, 0
	v_lshlrev_b64 v[4:5], 4, v[2:3]
	v_mov_b32_e32 v1, s1
	v_add_co_u32_e32 v6, vcc, s0, v4
	v_addc_co_u32_e32 v7, vcc, v1, v5, vcc
	v_mov_b32_e32 v2, v3
	v_mov_b32_e32 v4, v3
	;; [unrolled: 1-line block ×3, first 2 shown]
	global_store_dwordx4 v[6:7], v[2:5], off
	s_or_b64 exec, exec, s[2:3]
	v_cmp_gt_u32_e32 vcc, 64, v0
	s_and_saveexec_b64 s[2:3], vcc
	s_cbranch_execz .LBB1_10
.LBB1_12:
	v_mov_b32_e32 v1, 0
	v_lshlrev_b64 v[2:3], 4, v[0:1]
	v_mov_b32_e32 v0, s1
	v_add_co_u32_e32 v4, vcc, s0, v2
	v_addc_co_u32_e32 v5, vcc, v0, v3, vcc
	v_mov_b32_e32 v2, 0xff
	v_mov_b32_e32 v0, v1
	;; [unrolled: 1-line block ×3, first 2 shown]
	global_store_dwordx4 v[4:5], v[0:3], off
	s_endpgm
	.section	.rodata,"a",@progbits
	.p2align	6, 0x0
	.amdhsa_kernel _ZN7rocprim6detail31init_lookback_scan_state_kernelINS0_19lookback_scan_stateIdLb0ELb1EEEEEvT_jjPNS4_10value_typeE
		.amdhsa_group_segment_fixed_size 0
		.amdhsa_private_segment_fixed_size 0
		.amdhsa_kernarg_size 280
		.amdhsa_user_sgpr_count 6
		.amdhsa_user_sgpr_private_segment_buffer 1
		.amdhsa_user_sgpr_dispatch_ptr 0
		.amdhsa_user_sgpr_queue_ptr 0
		.amdhsa_user_sgpr_kernarg_segment_ptr 1
		.amdhsa_user_sgpr_dispatch_id 0
		.amdhsa_user_sgpr_flat_scratch_init 0
		.amdhsa_user_sgpr_kernarg_preload_length 0
		.amdhsa_user_sgpr_kernarg_preload_offset 0
		.amdhsa_user_sgpr_private_segment_size 0
		.amdhsa_uses_dynamic_stack 0
		.amdhsa_system_sgpr_private_segment_wavefront_offset 0
		.amdhsa_system_sgpr_workgroup_id_x 1
		.amdhsa_system_sgpr_workgroup_id_y 0
		.amdhsa_system_sgpr_workgroup_id_z 0
		.amdhsa_system_sgpr_workgroup_info 0
		.amdhsa_system_vgpr_workitem_id 0
		.amdhsa_next_free_vgpr 10
		.amdhsa_next_free_sgpr 14
		.amdhsa_accum_offset 12
		.amdhsa_reserve_vcc 1
		.amdhsa_reserve_flat_scratch 0
		.amdhsa_float_round_mode_32 0
		.amdhsa_float_round_mode_16_64 0
		.amdhsa_float_denorm_mode_32 3
		.amdhsa_float_denorm_mode_16_64 3
		.amdhsa_dx10_clamp 1
		.amdhsa_ieee_mode 1
		.amdhsa_fp16_overflow 0
		.amdhsa_tg_split 0
		.amdhsa_exception_fp_ieee_invalid_op 0
		.amdhsa_exception_fp_denorm_src 0
		.amdhsa_exception_fp_ieee_div_zero 0
		.amdhsa_exception_fp_ieee_overflow 0
		.amdhsa_exception_fp_ieee_underflow 0
		.amdhsa_exception_fp_ieee_inexact 0
		.amdhsa_exception_int_div_zero 0
	.end_amdhsa_kernel
	.section	.text._ZN7rocprim6detail31init_lookback_scan_state_kernelINS0_19lookback_scan_stateIdLb0ELb1EEEEEvT_jjPNS4_10value_typeE,"axG",@progbits,_ZN7rocprim6detail31init_lookback_scan_state_kernelINS0_19lookback_scan_stateIdLb0ELb1EEEEEvT_jjPNS4_10value_typeE,comdat
.Lfunc_end1:
	.size	_ZN7rocprim6detail31init_lookback_scan_state_kernelINS0_19lookback_scan_stateIdLb0ELb1EEEEEvT_jjPNS4_10value_typeE, .Lfunc_end1-_ZN7rocprim6detail31init_lookback_scan_state_kernelINS0_19lookback_scan_stateIdLb0ELb1EEEEEvT_jjPNS4_10value_typeE
                                        ; -- End function
	.section	.AMDGPU.csdata,"",@progbits
; Kernel info:
; codeLenInByte = 364
; NumSgprs: 18
; NumVgprs: 10
; NumAgprs: 0
; TotalNumVgprs: 10
; ScratchSize: 0
; MemoryBound: 0
; FloatMode: 240
; IeeeMode: 1
; LDSByteSize: 0 bytes/workgroup (compile time only)
; SGPRBlocks: 2
; VGPRBlocks: 1
; NumSGPRsForWavesPerEU: 18
; NumVGPRsForWavesPerEU: 10
; AccumOffset: 12
; Occupancy: 8
; WaveLimiterHint : 0
; COMPUTE_PGM_RSRC2:SCRATCH_EN: 0
; COMPUTE_PGM_RSRC2:USER_SGPR: 6
; COMPUTE_PGM_RSRC2:TRAP_HANDLER: 0
; COMPUTE_PGM_RSRC2:TGID_X_EN: 1
; COMPUTE_PGM_RSRC2:TGID_Y_EN: 0
; COMPUTE_PGM_RSRC2:TGID_Z_EN: 0
; COMPUTE_PGM_RSRC2:TIDIG_COMP_CNT: 0
; COMPUTE_PGM_RSRC3_GFX90A:ACCUM_OFFSET: 2
; COMPUTE_PGM_RSRC3_GFX90A:TG_SPLIT: 0
	.section	.text._ZN7rocprim6detail20lookback_scan_kernelILNS0_25lookback_scan_determinismE0ELb1ENS0_19wrapped_scan_configINS_14default_configEdEEPdS6_N4RAJA9operators4plusIdddEEddNS0_19lookback_scan_stateIdLb1ELb1EEEEEvT2_T3_mT5_T4_T7_jPT6_SJ_bb,"axG",@progbits,_ZN7rocprim6detail20lookback_scan_kernelILNS0_25lookback_scan_determinismE0ELb1ENS0_19wrapped_scan_configINS_14default_configEdEEPdS6_N4RAJA9operators4plusIdddEEddNS0_19lookback_scan_stateIdLb1ELb1EEEEEvT2_T3_mT5_T4_T7_jPT6_SJ_bb,comdat
	.protected	_ZN7rocprim6detail20lookback_scan_kernelILNS0_25lookback_scan_determinismE0ELb1ENS0_19wrapped_scan_configINS_14default_configEdEEPdS6_N4RAJA9operators4plusIdddEEddNS0_19lookback_scan_stateIdLb1ELb1EEEEEvT2_T3_mT5_T4_T7_jPT6_SJ_bb ; -- Begin function _ZN7rocprim6detail20lookback_scan_kernelILNS0_25lookback_scan_determinismE0ELb1ENS0_19wrapped_scan_configINS_14default_configEdEEPdS6_N4RAJA9operators4plusIdddEEddNS0_19lookback_scan_stateIdLb1ELb1EEEEEvT2_T3_mT5_T4_T7_jPT6_SJ_bb
	.globl	_ZN7rocprim6detail20lookback_scan_kernelILNS0_25lookback_scan_determinismE0ELb1ENS0_19wrapped_scan_configINS_14default_configEdEEPdS6_N4RAJA9operators4plusIdddEEddNS0_19lookback_scan_stateIdLb1ELb1EEEEEvT2_T3_mT5_T4_T7_jPT6_SJ_bb
	.p2align	8
	.type	_ZN7rocprim6detail20lookback_scan_kernelILNS0_25lookback_scan_determinismE0ELb1ENS0_19wrapped_scan_configINS_14default_configEdEEPdS6_N4RAJA9operators4plusIdddEEddNS0_19lookback_scan_stateIdLb1ELb1EEEEEvT2_T3_mT5_T4_T7_jPT6_SJ_bb,@function
_ZN7rocprim6detail20lookback_scan_kernelILNS0_25lookback_scan_determinismE0ELb1ENS0_19wrapped_scan_configINS_14default_configEdEEPdS6_N4RAJA9operators4plusIdddEEddNS0_19lookback_scan_stateIdLb1ELb1EEEEEvT2_T3_mT5_T4_T7_jPT6_SJ_bb: ; @_ZN7rocprim6detail20lookback_scan_kernelILNS0_25lookback_scan_determinismE0ELb1ENS0_19wrapped_scan_configINS_14default_configEdEEPdS6_N4RAJA9operators4plusIdddEEddNS0_19lookback_scan_stateIdLb1ELb1EEEEEvT2_T3_mT5_T4_T7_jPT6_SJ_bb
; %bb.0:
	s_endpgm
	.section	.rodata,"a",@progbits
	.p2align	6, 0x0
	.amdhsa_kernel _ZN7rocprim6detail20lookback_scan_kernelILNS0_25lookback_scan_determinismE0ELb1ENS0_19wrapped_scan_configINS_14default_configEdEEPdS6_N4RAJA9operators4plusIdddEEddNS0_19lookback_scan_stateIdLb1ELb1EEEEEvT2_T3_mT5_T4_T7_jPT6_SJ_bb
		.amdhsa_group_segment_fixed_size 0
		.amdhsa_private_segment_fixed_size 0
		.amdhsa_kernarg_size 76
		.amdhsa_user_sgpr_count 6
		.amdhsa_user_sgpr_private_segment_buffer 1
		.amdhsa_user_sgpr_dispatch_ptr 0
		.amdhsa_user_sgpr_queue_ptr 0
		.amdhsa_user_sgpr_kernarg_segment_ptr 1
		.amdhsa_user_sgpr_dispatch_id 0
		.amdhsa_user_sgpr_flat_scratch_init 0
		.amdhsa_user_sgpr_kernarg_preload_length 0
		.amdhsa_user_sgpr_kernarg_preload_offset 0
		.amdhsa_user_sgpr_private_segment_size 0
		.amdhsa_uses_dynamic_stack 0
		.amdhsa_system_sgpr_private_segment_wavefront_offset 0
		.amdhsa_system_sgpr_workgroup_id_x 1
		.amdhsa_system_sgpr_workgroup_id_y 0
		.amdhsa_system_sgpr_workgroup_id_z 0
		.amdhsa_system_sgpr_workgroup_info 0
		.amdhsa_system_vgpr_workitem_id 0
		.amdhsa_next_free_vgpr 1
		.amdhsa_next_free_sgpr 0
		.amdhsa_accum_offset 4
		.amdhsa_reserve_vcc 0
		.amdhsa_reserve_flat_scratch 0
		.amdhsa_float_round_mode_32 0
		.amdhsa_float_round_mode_16_64 0
		.amdhsa_float_denorm_mode_32 3
		.amdhsa_float_denorm_mode_16_64 3
		.amdhsa_dx10_clamp 1
		.amdhsa_ieee_mode 1
		.amdhsa_fp16_overflow 0
		.amdhsa_tg_split 0
		.amdhsa_exception_fp_ieee_invalid_op 0
		.amdhsa_exception_fp_denorm_src 0
		.amdhsa_exception_fp_ieee_div_zero 0
		.amdhsa_exception_fp_ieee_overflow 0
		.amdhsa_exception_fp_ieee_underflow 0
		.amdhsa_exception_fp_ieee_inexact 0
		.amdhsa_exception_int_div_zero 0
	.end_amdhsa_kernel
	.section	.text._ZN7rocprim6detail20lookback_scan_kernelILNS0_25lookback_scan_determinismE0ELb1ENS0_19wrapped_scan_configINS_14default_configEdEEPdS6_N4RAJA9operators4plusIdddEEddNS0_19lookback_scan_stateIdLb1ELb1EEEEEvT2_T3_mT5_T4_T7_jPT6_SJ_bb,"axG",@progbits,_ZN7rocprim6detail20lookback_scan_kernelILNS0_25lookback_scan_determinismE0ELb1ENS0_19wrapped_scan_configINS_14default_configEdEEPdS6_N4RAJA9operators4plusIdddEEddNS0_19lookback_scan_stateIdLb1ELb1EEEEEvT2_T3_mT5_T4_T7_jPT6_SJ_bb,comdat
.Lfunc_end2:
	.size	_ZN7rocprim6detail20lookback_scan_kernelILNS0_25lookback_scan_determinismE0ELb1ENS0_19wrapped_scan_configINS_14default_configEdEEPdS6_N4RAJA9operators4plusIdddEEddNS0_19lookback_scan_stateIdLb1ELb1EEEEEvT2_T3_mT5_T4_T7_jPT6_SJ_bb, .Lfunc_end2-_ZN7rocprim6detail20lookback_scan_kernelILNS0_25lookback_scan_determinismE0ELb1ENS0_19wrapped_scan_configINS_14default_configEdEEPdS6_N4RAJA9operators4plusIdddEEddNS0_19lookback_scan_stateIdLb1ELb1EEEEEvT2_T3_mT5_T4_T7_jPT6_SJ_bb
                                        ; -- End function
	.section	.AMDGPU.csdata,"",@progbits
; Kernel info:
; codeLenInByte = 4
; NumSgprs: 4
; NumVgprs: 0
; NumAgprs: 0
; TotalNumVgprs: 0
; ScratchSize: 0
; MemoryBound: 0
; FloatMode: 240
; IeeeMode: 1
; LDSByteSize: 0 bytes/workgroup (compile time only)
; SGPRBlocks: 0
; VGPRBlocks: 0
; NumSGPRsForWavesPerEU: 4
; NumVGPRsForWavesPerEU: 1
; AccumOffset: 4
; Occupancy: 8
; WaveLimiterHint : 0
; COMPUTE_PGM_RSRC2:SCRATCH_EN: 0
; COMPUTE_PGM_RSRC2:USER_SGPR: 6
; COMPUTE_PGM_RSRC2:TRAP_HANDLER: 0
; COMPUTE_PGM_RSRC2:TGID_X_EN: 1
; COMPUTE_PGM_RSRC2:TGID_Y_EN: 0
; COMPUTE_PGM_RSRC2:TGID_Z_EN: 0
; COMPUTE_PGM_RSRC2:TIDIG_COMP_CNT: 0
; COMPUTE_PGM_RSRC3_GFX90A:ACCUM_OFFSET: 0
; COMPUTE_PGM_RSRC3_GFX90A:TG_SPLIT: 0
	.section	.text._ZN7rocprim6detail20lookback_scan_kernelILNS0_25lookback_scan_determinismE0ELb1ENS0_19wrapped_scan_configINS_14default_configEdEEPdS6_N4RAJA9operators4plusIdddEEddNS0_19lookback_scan_stateIdLb0ELb1EEEEEvT2_T3_mT5_T4_T7_jPT6_SJ_bb,"axG",@progbits,_ZN7rocprim6detail20lookback_scan_kernelILNS0_25lookback_scan_determinismE0ELb1ENS0_19wrapped_scan_configINS_14default_configEdEEPdS6_N4RAJA9operators4plusIdddEEddNS0_19lookback_scan_stateIdLb0ELb1EEEEEvT2_T3_mT5_T4_T7_jPT6_SJ_bb,comdat
	.protected	_ZN7rocprim6detail20lookback_scan_kernelILNS0_25lookback_scan_determinismE0ELb1ENS0_19wrapped_scan_configINS_14default_configEdEEPdS6_N4RAJA9operators4plusIdddEEddNS0_19lookback_scan_stateIdLb0ELb1EEEEEvT2_T3_mT5_T4_T7_jPT6_SJ_bb ; -- Begin function _ZN7rocprim6detail20lookback_scan_kernelILNS0_25lookback_scan_determinismE0ELb1ENS0_19wrapped_scan_configINS_14default_configEdEEPdS6_N4RAJA9operators4plusIdddEEddNS0_19lookback_scan_stateIdLb0ELb1EEEEEvT2_T3_mT5_T4_T7_jPT6_SJ_bb
	.globl	_ZN7rocprim6detail20lookback_scan_kernelILNS0_25lookback_scan_determinismE0ELb1ENS0_19wrapped_scan_configINS_14default_configEdEEPdS6_N4RAJA9operators4plusIdddEEddNS0_19lookback_scan_stateIdLb0ELb1EEEEEvT2_T3_mT5_T4_T7_jPT6_SJ_bb
	.p2align	8
	.type	_ZN7rocprim6detail20lookback_scan_kernelILNS0_25lookback_scan_determinismE0ELb1ENS0_19wrapped_scan_configINS_14default_configEdEEPdS6_N4RAJA9operators4plusIdddEEddNS0_19lookback_scan_stateIdLb0ELb1EEEEEvT2_T3_mT5_T4_T7_jPT6_SJ_bb,@function
_ZN7rocprim6detail20lookback_scan_kernelILNS0_25lookback_scan_determinismE0ELb1ENS0_19wrapped_scan_configINS_14default_configEdEEPdS6_N4RAJA9operators4plusIdddEEddNS0_19lookback_scan_stateIdLb0ELb1EEEEEvT2_T3_mT5_T4_T7_jPT6_SJ_bb: ; @_ZN7rocprim6detail20lookback_scan_kernelILNS0_25lookback_scan_determinismE0ELb1ENS0_19wrapped_scan_configINS_14default_configEdEEPdS6_N4RAJA9operators4plusIdddEEddNS0_19lookback_scan_stateIdLb0ELb1EEEEEvT2_T3_mT5_T4_T7_jPT6_SJ_bb
; %bb.0:
	s_load_dword s1, s[4:5], 0x30
	s_load_dwordx8 s[8:15], s[4:5], 0x0
	s_mul_i32 s0, s6, 0x500
	v_lshlrev_b32_e32 v44, 3, v0
	s_waitcnt lgkmcnt(0)
	s_add_i32 s2, s1, -1
	s_mul_i32 s3, s2, 0x500
	s_sub_u32 s24, s12, s3
	s_subb_u32 s25, s13, 0
	s_mov_b32 s1, 0
	s_cmp_lg_u32 s6, s2
	s_cselect_b64 s[12:13], -1, 0
	s_lshl_b64 s[20:21], s[0:1], 3
	s_add_u32 s2, s8, s20
	s_addc_u32 s3, s9, s21
	s_mov_b64 s[0:1], -1
	s_and_b64 vcc, exec, s[12:13]
	s_cbranch_vccz .LBB3_2
; %bb.1:
	v_mov_b32_e32 v1, s3
	v_add_co_u32_e32 v20, vcc, s2, v44
	v_addc_co_u32_e32 v1, vcc, 0, v1, vcc
	v_add_co_u32_e32 v10, vcc, 0x1000, v20
	v_addc_co_u32_e32 v11, vcc, 0, v1, vcc
	global_load_dwordx2 v[2:3], v44, s[2:3]
	global_load_dwordx2 v[4:5], v44, s[2:3] offset:1024
	global_load_dwordx2 v[6:7], v44, s[2:3] offset:2048
	;; [unrolled: 1-line block ×3, first 2 shown]
	global_load_dwordx2 v[12:13], v[10:11], off
	global_load_dwordx2 v[14:15], v[10:11], off offset:1024
	global_load_dwordx2 v[16:17], v[10:11], off offset:2048
	;; [unrolled: 1-line block ×3, first 2 shown]
	v_add_co_u32_e32 v10, vcc, 0x2000, v20
	v_addc_co_u32_e32 v11, vcc, 0, v1, vcc
	global_load_dwordx2 v[20:21], v[10:11], off
	global_load_dwordx2 v[22:23], v[10:11], off offset:1024
	s_mov_b64 s[0:1], 0
	s_waitcnt vmcnt(8)
	ds_write2st64_b64 v44, v[2:3], v[4:5] offset1:2
	s_waitcnt vmcnt(6)
	ds_write2st64_b64 v44, v[6:7], v[8:9] offset0:4 offset1:6
	s_waitcnt vmcnt(4)
	ds_write2st64_b64 v44, v[12:13], v[14:15] offset0:8 offset1:10
	;; [unrolled: 2-line block ×4, first 2 shown]
	s_waitcnt lgkmcnt(0)
	s_barrier
.LBB3_2:
	s_andn2_b64 vcc, exec, s[0:1]
	v_cmp_gt_u32_e64 s[0:1], s24, v0
	s_cbranch_vccnz .LBB3_24
; %bb.3:
	s_load_dwordx2 s[36:37], s[2:3], 0x0
	v_mov_b32_e32 v1, s3
	v_add_co_u32_e32 v34, vcc, s2, v44
	v_addc_co_u32_e32 v35, vcc, 0, v1, vcc
	s_waitcnt lgkmcnt(0)
	s_mov_b32 s38, s36
	s_mov_b32 s39, s37
	;; [unrolled: 1-line block ×18, first 2 shown]
	v_pk_mov_b32 v[2:3], s[36:37], s[36:37] op_sel:[0,1]
	v_pk_mov_b32 v[4:5], s[38:39], s[38:39] op_sel:[0,1]
	;; [unrolled: 1-line block ×16, first 2 shown]
	s_and_saveexec_b64 s[2:3], s[0:1]
	s_cbranch_execz .LBB3_5
; %bb.4:
	global_load_dwordx2 v[2:3], v[34:35], off
	v_mov_b32_e32 v4, s36
	v_mov_b32_e32 v5, s37
	v_mov_b32_e32 v6, s36
	v_mov_b32_e32 v7, s37
	v_mov_b32_e32 v8, s36
	v_mov_b32_e32 v9, s37
	v_mov_b32_e32 v10, s36
	v_mov_b32_e32 v11, s37
	v_mov_b32_e32 v12, s36
	v_mov_b32_e32 v13, s37
	v_mov_b32_e32 v14, s36
	v_mov_b32_e32 v15, s37
	v_mov_b32_e32 v16, s36
	v_mov_b32_e32 v17, s37
	v_mov_b32_e32 v18, s36
	v_mov_b32_e32 v19, s37
	v_mov_b32_e32 v20, s36
	v_mov_b32_e32 v21, s37
.LBB3_5:
	s_or_b64 exec, exec, s[2:3]
	v_or_b32_e32 v1, 0x80, v0
	v_cmp_gt_u32_e32 vcc, s24, v1
	s_and_saveexec_b64 s[0:1], vcc
	s_cbranch_execz .LBB3_7
; %bb.6:
	global_load_dwordx2 v[4:5], v[34:35], off offset:1024
.LBB3_7:
	s_or_b64 exec, exec, s[0:1]
	v_or_b32_e32 v1, 0x100, v0
	v_cmp_gt_u32_e32 vcc, s24, v1
	s_and_saveexec_b64 s[0:1], vcc
	s_cbranch_execz .LBB3_9
; %bb.8:
	global_load_dwordx2 v[6:7], v[34:35], off offset:2048
.LBB3_9:
	;; [unrolled: 8-line block ×3, first 2 shown]
	s_or_b64 exec, exec, s[0:1]
	v_or_b32_e32 v1, 0x200, v0
	v_cmp_gt_u32_e32 vcc, s24, v1
	s_and_saveexec_b64 s[0:1], vcc
	s_cbranch_execz .LBB3_13
; %bb.12:
	v_add_co_u32_e32 v10, vcc, 0x1000, v34
	v_addc_co_u32_e32 v11, vcc, 0, v35, vcc
	global_load_dwordx2 v[10:11], v[10:11], off
.LBB3_13:
	s_or_b64 exec, exec, s[0:1]
	v_or_b32_e32 v1, 0x280, v0
	v_cmp_gt_u32_e32 vcc, s24, v1
	s_and_saveexec_b64 s[0:1], vcc
	s_cbranch_execz .LBB3_15
; %bb.14:
	v_add_co_u32_e32 v12, vcc, 0x1000, v34
	v_addc_co_u32_e32 v13, vcc, 0, v35, vcc
	global_load_dwordx2 v[12:13], v[12:13], off offset:1024
.LBB3_15:
	s_or_b64 exec, exec, s[0:1]
	v_or_b32_e32 v1, 0x300, v0
	v_cmp_gt_u32_e32 vcc, s24, v1
	s_and_saveexec_b64 s[0:1], vcc
	s_cbranch_execz .LBB3_17
; %bb.16:
	v_add_co_u32_e32 v14, vcc, 0x1000, v34
	v_addc_co_u32_e32 v15, vcc, 0, v35, vcc
	global_load_dwordx2 v[14:15], v[14:15], off offset:2048
.LBB3_17:
	;; [unrolled: 10-line block ×3, first 2 shown]
	s_or_b64 exec, exec, s[0:1]
	v_or_b32_e32 v1, 0x400, v0
	v_cmp_gt_u32_e32 vcc, s24, v1
	s_and_saveexec_b64 s[0:1], vcc
	s_cbranch_execz .LBB3_21
; %bb.20:
	v_add_co_u32_e32 v18, vcc, 0x2000, v34
	v_addc_co_u32_e32 v19, vcc, 0, v35, vcc
	global_load_dwordx2 v[18:19], v[18:19], off
.LBB3_21:
	s_or_b64 exec, exec, s[0:1]
	v_or_b32_e32 v1, 0x480, v0
	v_cmp_gt_u32_e32 vcc, s24, v1
	s_and_saveexec_b64 s[0:1], vcc
	s_cbranch_execz .LBB3_23
; %bb.22:
	v_add_co_u32_e32 v20, vcc, 0x2000, v34
	v_addc_co_u32_e32 v21, vcc, 0, v35, vcc
	global_load_dwordx2 v[20:21], v[20:21], off offset:1024
.LBB3_23:
	s_or_b64 exec, exec, s[0:1]
	s_waitcnt vmcnt(0)
	ds_write2st64_b64 v44, v[2:3], v[4:5] offset1:2
	ds_write2st64_b64 v44, v[6:7], v[8:9] offset0:4 offset1:6
	ds_write2st64_b64 v44, v[10:11], v[12:13] offset0:8 offset1:10
	;; [unrolled: 1-line block ×4, first 2 shown]
	s_waitcnt lgkmcnt(0)
	s_barrier
.LBB3_24:
	s_load_dwordx2 s[22:23], s[4:5], 0x28
	v_mul_u32_u24_e32 v45, 10, v0
	v_lshlrev_b32_e32 v46, 3, v45
	s_waitcnt lgkmcnt(0)
	ds_read_b128 v[14:17], v46
	ds_read_b128 v[10:13], v46 offset:16
	ds_read_b128 v[6:9], v46 offset:32
	;; [unrolled: 1-line block ×4, first 2 shown]
	s_waitcnt lgkmcnt(4)
	v_add_f64 v[22:23], v[14:15], v[16:17]
	s_cmp_lg_u32 s6, 0
	s_waitcnt lgkmcnt(3)
	v_add_f64 v[42:43], v[10:11], v[22:23]
	v_mbcnt_lo_u32_b32 v1, -1, 0
	s_waitcnt lgkmcnt(0)
	s_barrier
	s_cbranch_scc0 .LBB3_53
; %bb.25:
	v_add_f64 v[22:23], v[12:13], v[42:43]
	v_add_f64 v[22:23], v[6:7], v[22:23]
	;; [unrolled: 1-line block ×7, first 2 shown]
	v_mbcnt_hi_u32_b32 v33, -1, v1
	v_and_b32_e32 v28, 15, v33
	v_mov_b32_dpp v24, v22 row_shr:1 row_mask:0xf bank_mask:0xf
	v_mov_b32_dpp v25, v23 row_shr:1 row_mask:0xf bank_mask:0xf
	v_add_f64 v[24:25], v[22:23], v[24:25]
	v_cmp_eq_u32_e32 vcc, 0, v28
	v_cndmask_b32_e32 v24, v24, v22, vcc
	v_cndmask_b32_e32 v25, v25, v23, vcc
	v_cmp_lt_u32_e32 vcc, 1, v28
	v_mov_b32_dpp v26, v24 row_shr:2 row_mask:0xf bank_mask:0xf
	v_mov_b32_dpp v27, v25 row_shr:2 row_mask:0xf bank_mask:0xf
	v_add_f64 v[26:27], v[24:25], v[26:27]
	v_cndmask_b32_e32 v24, v24, v26, vcc
	v_cndmask_b32_e32 v25, v25, v27, vcc
	v_cmp_lt_u32_e32 vcc, 3, v28
	v_mov_b32_dpp v26, v24 row_shr:4 row_mask:0xf bank_mask:0xf
	v_mov_b32_dpp v27, v25 row_shr:4 row_mask:0xf bank_mask:0xf
	v_add_f64 v[26:27], v[24:25], v[26:27]
	;; [unrolled: 6-line block ×3, first 2 shown]
	v_cndmask_b32_e32 v24, v24, v26, vcc
	v_cndmask_b32_e32 v25, v25, v27, vcc
	v_and_b32_e32 v30, 16, v33
	v_mov_b32_dpp v26, v24 row_bcast:15 row_mask:0xf bank_mask:0xf
	v_mov_b32_dpp v27, v25 row_bcast:15 row_mask:0xf bank_mask:0xf
	v_add_f64 v[28:29], v[24:25], v[26:27]
	v_cmp_eq_u32_e32 vcc, 0, v30
	v_cndmask_b32_e32 v27, v29, v25, vcc
	v_cndmask_b32_e32 v26, v28, v24, vcc
	v_cmp_eq_u32_e64 s[0:1], 0, v33
	v_mov_b32_dpp v27, v27 row_bcast:31 row_mask:0xf bank_mask:0xf
	v_mov_b32_dpp v26, v26 row_bcast:31 row_mask:0xf bank_mask:0xf
	v_cmp_ne_u32_e64 s[2:3], 0, v33
	s_and_saveexec_b64 s[16:17], s[2:3]
; %bb.26:
	v_cndmask_b32_e32 v23, v29, v25, vcc
	v_cndmask_b32_e32 v22, v28, v24, vcc
	v_add_f64 v[24:25], v[22:23], v[26:27]
	v_cmp_lt_u32_e32 vcc, 31, v33
	v_cndmask_b32_e32 v23, v23, v25, vcc
	v_cndmask_b32_e32 v22, v22, v24, vcc
; %bb.27:
	s_or_b64 exec, exec, s[16:17]
	v_or_b32_e32 v25, 63, v0
	v_lshrrev_b32_e32 v24, 6, v0
	v_cmp_eq_u32_e32 vcc, v25, v0
	s_and_saveexec_b64 s[2:3], vcc
	s_cbranch_execz .LBB3_29
; %bb.28:
	v_lshlrev_b32_e32 v25, 3, v24
	ds_write_b64 v25, v[22:23]
.LBB3_29:
	s_or_b64 exec, exec, s[2:3]
	v_cmp_gt_u32_e32 vcc, 2, v0
	s_waitcnt lgkmcnt(0)
	s_barrier
	s_and_saveexec_b64 s[2:3], vcc
	s_cbranch_execz .LBB3_31
; %bb.30:
	ds_read_b64 v[26:27], v44
	v_and_b32_e32 v25, 1, v33
	v_cmp_eq_u32_e32 vcc, 0, v25
	s_waitcnt lgkmcnt(0)
	v_mov_b32_dpp v28, v26 row_shr:1 row_mask:0xf bank_mask:0xf
	v_mov_b32_dpp v29, v27 row_shr:1 row_mask:0xf bank_mask:0xf
	v_add_f64 v[28:29], v[26:27], v[28:29]
	v_cndmask_b32_e32 v27, v29, v27, vcc
	v_cndmask_b32_e32 v26, v28, v26, vcc
	ds_write_b64 v44, v[26:27]
.LBB3_31:
	s_or_b64 exec, exec, s[2:3]
	v_cmp_gt_u32_e32 vcc, 64, v0
	v_cmp_lt_u32_e64 s[2:3], 63, v0
	s_waitcnt lgkmcnt(0)
	s_barrier
	s_waitcnt lgkmcnt(0)
                                        ; implicit-def: $vgpr30_vgpr31
	s_and_saveexec_b64 s[16:17], s[2:3]
	s_cbranch_execz .LBB3_33
; %bb.32:
	v_lshl_add_u32 v24, v24, 3, -8
	ds_read_b64 v[30:31], v24
	s_waitcnt lgkmcnt(0)
	v_add_f64 v[22:23], v[22:23], v[30:31]
.LBB3_33:
	s_or_b64 exec, exec, s[16:17]
	v_add_u32_e32 v24, -1, v33
	v_and_b32_e32 v25, 64, v33
	v_cmp_lt_i32_e64 s[2:3], v24, v25
	v_cndmask_b32_e64 v24, v24, v33, s[2:3]
	v_lshlrev_b32_e32 v24, 2, v24
	ds_bpermute_b32 v38, v24, v22
	ds_bpermute_b32 v39, v24, v23
	s_and_saveexec_b64 s[16:17], vcc
	s_cbranch_execz .LBB3_52
; %bb.34:
	v_mov_b32_e32 v25, 0
	ds_read_b64 v[22:23], v25 offset:8
	s_and_saveexec_b64 s[2:3], s[0:1]
	s_cbranch_execz .LBB3_36
; %bb.35:
	s_add_i32 s18, s6, 64
	s_mov_b32 s19, 0
	s_lshl_b64 s[18:19], s[18:19], 4
	s_add_u32 s18, s22, s18
	s_addc_u32 s19, s23, s19
	v_mov_b32_e32 v24, 1
	v_pk_mov_b32 v[26:27], s[18:19], s[18:19] op_sel:[0,1]
	s_waitcnt lgkmcnt(0)
	;;#ASMSTART
	global_store_dwordx4 v[26:27], v[22:25] off	
s_waitcnt vmcnt(0)
	;;#ASMEND
.LBB3_36:
	s_or_b64 exec, exec, s[2:3]
	v_xad_u32 v32, v33, -1, s6
	v_add_u32_e32 v24, 64, v32
	v_lshlrev_b64 v[26:27], 4, v[24:25]
	v_mov_b32_e32 v24, s23
	v_add_co_u32_e32 v34, vcc, s22, v26
	v_addc_co_u32_e32 v35, vcc, v24, v27, vcc
	;;#ASMSTART
	global_load_dwordx4 v[26:29], v[34:35] off glc	
s_waitcnt vmcnt(0)
	;;#ASMEND
	v_cmp_eq_u16_sdwa s[18:19], v28, v25 src0_sel:BYTE_0 src1_sel:DWORD
	s_and_saveexec_b64 s[2:3], s[18:19]
	s_cbranch_execz .LBB3_40
; %bb.37:
	s_mov_b64 s[18:19], 0
	v_mov_b32_e32 v24, 0
.LBB3_38:                               ; =>This Inner Loop Header: Depth=1
	;;#ASMSTART
	global_load_dwordx4 v[26:29], v[34:35] off glc	
s_waitcnt vmcnt(0)
	;;#ASMEND
	v_cmp_ne_u16_sdwa s[26:27], v28, v24 src0_sel:BYTE_0 src1_sel:DWORD
	s_or_b64 s[18:19], s[26:27], s[18:19]
	s_andn2_b64 exec, exec, s[18:19]
	s_cbranch_execnz .LBB3_38
; %bb.39:
	s_or_b64 exec, exec, s[18:19]
.LBB3_40:
	s_or_b64 exec, exec, s[2:3]
	v_and_b32_e32 v37, 63, v33
	v_cmp_ne_u32_e32 vcc, 63, v37
	v_mov_b32_e32 v40, 2
	v_addc_co_u32_e32 v34, vcc, 0, v33, vcc
	v_cmp_eq_u16_sdwa s[2:3], v28, v40 src0_sel:BYTE_0 src1_sel:DWORD
	v_lshlrev_b64 v[24:25], v33, -1
	v_lshlrev_b32_e32 v41, 2, v34
	v_and_b32_e32 v29, s3, v25
	ds_bpermute_b32 v34, v41, v26
	ds_bpermute_b32 v35, v41, v27
	v_or_b32_e32 v29, 0x80000000, v29
	v_and_b32_e32 v36, s2, v24
	v_ffbl_b32_e32 v29, v29
	v_add_u32_e32 v29, 32, v29
	v_ffbl_b32_e32 v36, v36
	v_min_u32_e32 v29, v36, v29
	v_add_u32_e32 v47, 1, v33
	s_waitcnt lgkmcnt(0)
	v_add_f64 v[34:35], v[26:27], v[34:35]
	v_cmp_gt_u32_e32 vcc, v47, v29
	v_cndmask_b32_e32 v26, v34, v26, vcc
	v_cndmask_b32_e32 v27, v35, v27, vcc
	v_cmp_gt_u32_e32 vcc, 62, v37
	v_cndmask_b32_e64 v34, 0, 1, vcc
	v_lshlrev_b32_e32 v34, 1, v34
	v_add_lshl_u32 v48, v34, v33, 2
	ds_bpermute_b32 v34, v48, v26
	ds_bpermute_b32 v35, v48, v27
	v_add_u32_e32 v49, 2, v33
	v_cmp_gt_u32_e32 vcc, v49, v29
	v_add_u32_e32 v51, 4, v33
	v_add_u32_e32 v53, 8, v33
	s_waitcnt lgkmcnt(0)
	v_add_f64 v[34:35], v[26:27], v[34:35]
	v_cndmask_b32_e32 v26, v34, v26, vcc
	v_cndmask_b32_e32 v27, v35, v27, vcc
	v_cmp_gt_u32_e32 vcc, 60, v37
	v_cndmask_b32_e64 v34, 0, 1, vcc
	v_lshlrev_b32_e32 v34, 2, v34
	v_add_lshl_u32 v50, v34, v33, 2
	ds_bpermute_b32 v34, v50, v26
	ds_bpermute_b32 v35, v50, v27
	v_cmp_gt_u32_e32 vcc, v51, v29
	v_add_u32_e32 v55, 16, v33
	v_cmp_gt_u32_e64 s[2:3], 32, v37
	v_add_u32_e32 v57, 32, v33
	s_waitcnt lgkmcnt(0)
	v_add_f64 v[34:35], v[26:27], v[34:35]
	v_cndmask_b32_e32 v26, v34, v26, vcc
	v_cndmask_b32_e32 v27, v35, v27, vcc
	v_cmp_gt_u32_e32 vcc, 56, v37
	v_cndmask_b32_e64 v34, 0, 1, vcc
	v_lshlrev_b32_e32 v34, 3, v34
	v_add_lshl_u32 v52, v34, v33, 2
	ds_bpermute_b32 v34, v52, v26
	ds_bpermute_b32 v35, v52, v27
	v_cmp_gt_u32_e32 vcc, v53, v29
	s_waitcnt lgkmcnt(0)
	v_add_f64 v[34:35], v[26:27], v[34:35]
	v_cndmask_b32_e32 v26, v34, v26, vcc
	v_cndmask_b32_e32 v27, v35, v27, vcc
	v_cmp_gt_u32_e32 vcc, 48, v37
	v_cndmask_b32_e64 v34, 0, 1, vcc
	v_lshlrev_b32_e32 v34, 4, v34
	v_add_lshl_u32 v54, v34, v33, 2
	ds_bpermute_b32 v34, v54, v26
	ds_bpermute_b32 v35, v54, v27
	v_cmp_gt_u32_e32 vcc, v55, v29
	s_waitcnt lgkmcnt(0)
	v_add_f64 v[34:35], v[26:27], v[34:35]
	v_cndmask_b32_e32 v26, v34, v26, vcc
	v_cndmask_b32_e64 v34, 0, 1, s[2:3]
	v_lshlrev_b32_e32 v34, 5, v34
	v_add_lshl_u32 v56, v34, v33, 2
	v_cndmask_b32_e32 v27, v35, v27, vcc
	ds_bpermute_b32 v34, v56, v26
	ds_bpermute_b32 v35, v56, v27
	v_cmp_gt_u32_e32 vcc, v57, v29
	v_mov_b32_e32 v33, 0
	s_waitcnt lgkmcnt(0)
	v_add_f64 v[34:35], v[26:27], v[34:35]
	v_cndmask_b32_e32 v27, v35, v27, vcc
	v_cndmask_b32_e32 v26, v34, v26, vcc
	s_branch .LBB3_42
.LBB3_41:                               ;   in Loop: Header=BB3_42 Depth=1
	s_or_b64 exec, exec, s[2:3]
	v_cmp_eq_u16_sdwa s[2:3], v28, v40 src0_sel:BYTE_0 src1_sel:DWORD
	v_and_b32_e32 v29, s3, v25
	ds_bpermute_b32 v36, v41, v26
	ds_bpermute_b32 v37, v41, v27
	v_or_b32_e32 v29, 0x80000000, v29
	v_and_b32_e32 v58, s2, v24
	v_ffbl_b32_e32 v29, v29
	v_add_u32_e32 v29, 32, v29
	v_ffbl_b32_e32 v58, v58
	v_min_u32_e32 v29, v58, v29
	s_waitcnt lgkmcnt(0)
	v_add_f64 v[36:37], v[26:27], v[36:37]
	v_cmp_gt_u32_e32 vcc, v47, v29
	v_cndmask_b32_e32 v26, v36, v26, vcc
	v_cndmask_b32_e32 v27, v37, v27, vcc
	ds_bpermute_b32 v36, v48, v26
	ds_bpermute_b32 v37, v48, v27
	v_cmp_gt_u32_e32 vcc, v49, v29
	v_subrev_u32_e32 v32, 64, v32
	s_waitcnt lgkmcnt(0)
	v_add_f64 v[36:37], v[26:27], v[36:37]
	v_cndmask_b32_e32 v26, v36, v26, vcc
	v_cndmask_b32_e32 v27, v37, v27, vcc
	ds_bpermute_b32 v36, v50, v26
	ds_bpermute_b32 v37, v50, v27
	v_cmp_gt_u32_e32 vcc, v51, v29
	s_waitcnt lgkmcnt(0)
	v_add_f64 v[36:37], v[26:27], v[36:37]
	v_cndmask_b32_e32 v26, v36, v26, vcc
	v_cndmask_b32_e32 v27, v37, v27, vcc
	ds_bpermute_b32 v36, v52, v26
	ds_bpermute_b32 v37, v52, v27
	v_cmp_gt_u32_e32 vcc, v53, v29
	;; [unrolled: 7-line block ×4, first 2 shown]
	s_waitcnt lgkmcnt(0)
	v_add_f64 v[36:37], v[26:27], v[36:37]
	v_cndmask_b32_e32 v27, v37, v27, vcc
	v_cndmask_b32_e32 v26, v36, v26, vcc
	v_add_f64 v[26:27], v[34:35], v[26:27]
.LBB3_42:                               ; =>This Loop Header: Depth=1
                                        ;     Child Loop BB3_45 Depth 2
	v_cmp_ne_u16_sdwa s[2:3], v28, v40 src0_sel:BYTE_0 src1_sel:DWORD
	v_cndmask_b32_e64 v28, 0, 1, s[2:3]
	;;#ASMSTART
	;;#ASMEND
	v_cmp_ne_u32_e32 vcc, 0, v28
	s_cmp_lg_u64 vcc, exec
	v_pk_mov_b32 v[34:35], v[26:27], v[26:27] op_sel:[0,1]
	s_cbranch_scc1 .LBB3_47
; %bb.43:                               ;   in Loop: Header=BB3_42 Depth=1
	v_lshlrev_b64 v[26:27], 4, v[32:33]
	v_mov_b32_e32 v28, s23
	v_add_co_u32_e32 v36, vcc, s22, v26
	v_addc_co_u32_e32 v37, vcc, v28, v27, vcc
	;;#ASMSTART
	global_load_dwordx4 v[26:29], v[36:37] off glc	
s_waitcnt vmcnt(0)
	;;#ASMEND
	v_cmp_eq_u16_sdwa s[18:19], v28, v33 src0_sel:BYTE_0 src1_sel:DWORD
	s_and_saveexec_b64 s[2:3], s[18:19]
	s_cbranch_execz .LBB3_41
; %bb.44:                               ;   in Loop: Header=BB3_42 Depth=1
	s_mov_b64 s[18:19], 0
.LBB3_45:                               ;   Parent Loop BB3_42 Depth=1
                                        ; =>  This Inner Loop Header: Depth=2
	;;#ASMSTART
	global_load_dwordx4 v[26:29], v[36:37] off glc	
s_waitcnt vmcnt(0)
	;;#ASMEND
	v_cmp_ne_u16_sdwa s[26:27], v28, v33 src0_sel:BYTE_0 src1_sel:DWORD
	s_or_b64 s[18:19], s[26:27], s[18:19]
	s_andn2_b64 exec, exec, s[18:19]
	s_cbranch_execnz .LBB3_45
; %bb.46:                               ;   in Loop: Header=BB3_42 Depth=1
	s_or_b64 exec, exec, s[18:19]
	s_branch .LBB3_41
.LBB3_47:                               ;   in Loop: Header=BB3_42 Depth=1
                                        ; implicit-def: $vgpr26_vgpr27
                                        ; implicit-def: $vgpr28
	s_cbranch_execz .LBB3_42
; %bb.48:
	s_and_saveexec_b64 s[2:3], s[0:1]
	s_cbranch_execz .LBB3_50
; %bb.49:
	s_add_i32 s6, s6, 64
	s_mov_b32 s7, 0
	s_lshl_b64 s[6:7], s[6:7], 4
	s_add_u32 s6, s22, s6
	s_addc_u32 s7, s23, s7
	v_add_f64 v[22:23], v[22:23], v[34:35]
	v_mov_b32_e32 v24, 2
	v_mov_b32_e32 v25, 0
	v_pk_mov_b32 v[26:27], s[6:7], s[6:7] op_sel:[0,1]
	;;#ASMSTART
	global_store_dwordx4 v[26:27], v[22:25] off	
s_waitcnt vmcnt(0)
	;;#ASMEND
.LBB3_50:
	s_or_b64 exec, exec, s[2:3]
	v_cmp_eq_u32_e32 vcc, 0, v0
	s_and_b64 exec, exec, vcc
	s_cbranch_execz .LBB3_52
; %bb.51:
	v_mov_b32_e32 v22, 0
	ds_write_b64 v22, v[34:35] offset:8
.LBB3_52:
	s_or_b64 exec, exec, s[16:17]
	v_mov_b32_e32 v22, 0
	s_waitcnt lgkmcnt(0)
	s_barrier
	ds_read_b64 v[22:23], v22 offset:8
	v_cndmask_b32_e64 v25, v39, v31, s[0:1]
	v_cndmask_b32_e64 v24, v38, v30, s[0:1]
	v_cmp_eq_u32_e32 vcc, 0, v0
	s_waitcnt lgkmcnt(0)
	v_add_f64 v[24:25], v[24:25], v[22:23]
	v_cndmask_b32_e32 v39, v25, v23, vcc
	v_cndmask_b32_e32 v38, v24, v22, vcc
	v_add_f64 v[40:41], v[14:15], v[38:39]
	v_add_f64 v[34:35], v[16:17], v[40:41]
	;; [unrolled: 1-line block ×9, first 2 shown]
	s_load_dwordx4 s[16:19], s[4:5], 0x38
	s_branch .LBB3_67
.LBB3_53:
                                        ; implicit-def: $vgpr24_vgpr25
                                        ; implicit-def: $vgpr28_vgpr29
                                        ; implicit-def: $vgpr32_vgpr33
                                        ; implicit-def: $vgpr36_vgpr37
                                        ; implicit-def: $vgpr40_vgpr41
	s_load_dwordx4 s[16:19], s[4:5], 0x38
	s_cbranch_execz .LBB3_67
; %bb.54:
	s_load_dword s0, s[4:5], 0x48
	v_pk_mov_b32 v[24:25], s[14:15], s[14:15] op_sel:[0,1]
	s_waitcnt lgkmcnt(0)
	s_bitcmp0_b32 s0, 0
	s_cbranch_scc1 .LBB3_56
; %bb.55:
	s_add_u32 s0, s8, -8
	s_addc_u32 s1, s9, -1
	s_load_dwordx2 s[2:3], s[16:17], 0x0
	s_load_dwordx2 s[6:7], s[0:1], 0x0
	s_waitcnt lgkmcnt(0)
	v_pk_mov_b32 v[22:23], s[2:3], s[2:3] op_sel:[0,1]
	v_add_f64 v[24:25], s[6:7], v[22:23]
.LBB3_56:
	v_add_f64 v[22:23], v[12:13], v[42:43]
	v_add_f64 v[22:23], v[6:7], v[22:23]
	;; [unrolled: 1-line block ×7, first 2 shown]
	v_mbcnt_hi_u32_b32 v1, -1, v1
	v_and_b32_e32 v28, 15, v1
	v_mov_b32_dpp v22, v20 row_shr:1 row_mask:0xf bank_mask:0xf
	v_mov_b32_dpp v23, v21 row_shr:1 row_mask:0xf bank_mask:0xf
	v_add_f64 v[22:23], v[20:21], v[22:23]
	v_cmp_eq_u32_e32 vcc, 0, v28
	v_cndmask_b32_e32 v22, v22, v20, vcc
	v_cndmask_b32_e32 v23, v23, v21, vcc
	v_cmp_lt_u32_e32 vcc, 1, v28
	v_mov_b32_dpp v26, v22 row_shr:2 row_mask:0xf bank_mask:0xf
	v_mov_b32_dpp v27, v23 row_shr:2 row_mask:0xf bank_mask:0xf
	v_add_f64 v[26:27], v[22:23], v[26:27]
	v_cndmask_b32_e32 v22, v22, v26, vcc
	v_cndmask_b32_e32 v23, v23, v27, vcc
	v_cmp_lt_u32_e32 vcc, 3, v28
	v_mov_b32_dpp v26, v22 row_shr:4 row_mask:0xf bank_mask:0xf
	v_mov_b32_dpp v27, v23 row_shr:4 row_mask:0xf bank_mask:0xf
	v_add_f64 v[26:27], v[22:23], v[26:27]
	;; [unrolled: 6-line block ×3, first 2 shown]
	v_cndmask_b32_e32 v22, v22, v26, vcc
	v_cndmask_b32_e32 v23, v23, v27, vcc
	v_and_b32_e32 v30, 16, v1
	v_mov_b32_dpp v26, v22 row_bcast:15 row_mask:0xf bank_mask:0xf
	v_mov_b32_dpp v27, v23 row_bcast:15 row_mask:0xf bank_mask:0xf
	v_add_f64 v[28:29], v[22:23], v[26:27]
	v_cmp_eq_u32_e64 s[0:1], 0, v30
	v_cndmask_b32_e64 v27, v29, v23, s[0:1]
	v_cndmask_b32_e64 v26, v28, v22, s[0:1]
	v_cmp_eq_u32_e32 vcc, 0, v1
	v_mov_b32_dpp v27, v27 row_bcast:31 row_mask:0xf bank_mask:0xf
	v_mov_b32_dpp v26, v26 row_bcast:31 row_mask:0xf bank_mask:0xf
	v_cmp_ne_u32_e64 s[2:3], 0, v1
	s_and_saveexec_b64 s[6:7], s[2:3]
; %bb.57:
	v_cndmask_b32_e64 v21, v29, v23, s[0:1]
	v_cndmask_b32_e64 v20, v28, v22, s[0:1]
	v_add_f64 v[22:23], v[20:21], v[26:27]
	v_cmp_lt_u32_e64 s[0:1], 31, v1
	v_cndmask_b32_e64 v21, v21, v23, s[0:1]
	v_cndmask_b32_e64 v20, v20, v22, s[0:1]
; %bb.58:
	s_or_b64 exec, exec, s[6:7]
	v_or_b32_e32 v22, 63, v0
	v_lshrrev_b32_e32 v26, 6, v0
	v_cmp_eq_u32_e64 s[0:1], v22, v0
	s_and_saveexec_b64 s[2:3], s[0:1]
	s_cbranch_execz .LBB3_60
; %bb.59:
	v_lshlrev_b32_e32 v22, 3, v26
	ds_write_b64 v22, v[20:21]
.LBB3_60:
	s_or_b64 exec, exec, s[2:3]
	v_cmp_gt_u32_e64 s[0:1], 2, v0
	s_waitcnt lgkmcnt(0)
	s_barrier
	s_and_saveexec_b64 s[2:3], s[0:1]
	s_cbranch_execz .LBB3_62
; %bb.61:
	s_movk_i32 s0, 0xffb8
	v_mad_i32_i24 v27, v0, s0, v46
	ds_read_b64 v[22:23], v27
	v_and_b32_e32 v30, 1, v1
	v_cmp_eq_u32_e64 s[0:1], 0, v30
	s_waitcnt lgkmcnt(0)
	v_mov_b32_dpp v28, v22 row_shr:1 row_mask:0xf bank_mask:0xf
	v_mov_b32_dpp v29, v23 row_shr:1 row_mask:0xf bank_mask:0xf
	v_add_f64 v[28:29], v[22:23], v[28:29]
	v_cndmask_b32_e64 v23, v29, v23, s[0:1]
	v_cndmask_b32_e64 v22, v28, v22, s[0:1]
	ds_write_b64 v27, v[22:23]
.LBB3_62:
	s_or_b64 exec, exec, s[2:3]
	v_cmp_lt_u32_e64 s[0:1], 63, v0
	v_pk_mov_b32 v[22:23], v[24:25], v[24:25] op_sel:[0,1]
	s_waitcnt lgkmcnt(0)
	s_barrier
	s_and_saveexec_b64 s[2:3], s[0:1]
	s_cbranch_execz .LBB3_64
; %bb.63:
	v_lshl_add_u32 v22, v26, 3, -8
	ds_read_b64 v[22:23], v22
	s_waitcnt lgkmcnt(0)
	v_add_f64 v[22:23], v[24:25], v[22:23]
.LBB3_64:
	s_or_b64 exec, exec, s[2:3]
	v_add_u32_e32 v26, -1, v1
	v_and_b32_e32 v27, 64, v1
	v_cmp_lt_i32_e64 s[0:1], v26, v27
	v_cndmask_b32_e64 v1, v26, v1, s[0:1]
	v_add_f64 v[20:21], v[20:21], v[22:23]
	v_lshlrev_b32_e32 v1, 2, v1
	ds_bpermute_b32 v20, v1, v20
	ds_bpermute_b32 v1, v1, v21
	s_waitcnt lgkmcnt(1)
	v_cndmask_b32_e32 v20, v20, v22, vcc
	s_waitcnt lgkmcnt(0)
	v_cndmask_b32_e32 v1, v1, v23, vcc
	v_cmp_eq_u32_e32 vcc, 0, v0
	v_cndmask_b32_e32 v39, v1, v25, vcc
	v_cndmask_b32_e32 v38, v20, v24, vcc
	v_add_f64 v[40:41], v[14:15], v[38:39]
	v_add_f64 v[34:35], v[16:17], v[40:41]
	;; [unrolled: 1-line block ×8, first 2 shown]
	s_and_saveexec_b64 s[0:1], vcc
	s_cbranch_execz .LBB3_66
; %bb.65:
	v_mov_b32_e32 v5, 0
	ds_read_b64 v[2:3], v5 offset:8
	s_add_u32 s2, s22, 0x400
	s_addc_u32 s3, s23, 0
	v_mov_b32_e32 v4, 2
	v_pk_mov_b32 v[6:7], s[2:3], s[2:3] op_sel:[0,1]
	s_waitcnt lgkmcnt(0)
	v_add_f64 v[2:3], v[24:25], v[2:3]
	;;#ASMSTART
	global_store_dwordx4 v[6:7], v[2:5] off	
s_waitcnt vmcnt(0)
	;;#ASMEND
.LBB3_66:
	s_or_b64 exec, exec, s[0:1]
	v_add_f64 v[24:25], v[18:19], v[22:23]
.LBB3_67:
	s_add_u32 s0, s10, s20
	s_addc_u32 s1, s11, s21
	s_mov_b64 s[2:3], -1
	s_and_b64 vcc, exec, s[12:13]
	s_waitcnt lgkmcnt(0)
	s_barrier
	s_cbranch_vccz .LBB3_69
; %bb.68:
	ds_write_b128 v46, v[38:41]
	ds_write_b128 v46, v[34:37] offset:16
	ds_write_b128 v46, v[30:33] offset:32
	;; [unrolled: 1-line block ×4, first 2 shown]
	s_waitcnt lgkmcnt(0)
	s_barrier
	ds_read2st64_b64 v[2:5], v44 offset1:2
	ds_read2st64_b64 v[6:9], v44 offset0:4 offset1:6
	ds_read2st64_b64 v[10:13], v44 offset0:8 offset1:10
	;; [unrolled: 1-line block ×4, first 2 shown]
	v_mov_b32_e32 v1, s1
	v_add_co_u32_e32 v42, vcc, s0, v44
	v_addc_co_u32_e32 v1, vcc, 0, v1, vcc
	s_movk_i32 s2, 0x1000
	s_waitcnt lgkmcnt(4)
	global_store_dwordx2 v44, v[2:3], s[0:1]
	global_store_dwordx2 v44, v[4:5], s[0:1] offset:1024
	s_waitcnt lgkmcnt(3)
	global_store_dwordx2 v44, v[6:7], s[0:1] offset:2048
	global_store_dwordx2 v44, v[8:9], s[0:1] offset:3072
	v_add_co_u32_e32 v2, vcc, s2, v42
	v_addc_co_u32_e32 v3, vcc, 0, v1, vcc
	s_waitcnt lgkmcnt(2)
	global_store_dwordx2 v[2:3], v[10:11], off
	global_store_dwordx2 v[2:3], v[12:13], off offset:1024
	s_waitcnt lgkmcnt(1)
	global_store_dwordx2 v[2:3], v[14:15], off offset:2048
	global_store_dwordx2 v[2:3], v[16:17], off offset:3072
	v_add_co_u32_e32 v2, vcc, 0x2000, v42
	v_addc_co_u32_e32 v3, vcc, 0, v1, vcc
	s_waitcnt lgkmcnt(0)
	global_store_dwordx2 v[2:3], v[18:19], off
	global_store_dwordx2 v[2:3], v[20:21], off offset:1024
	s_mov_b64 s[2:3], 0
.LBB3_69:
	s_andn2_b64 vcc, exec, s[2:3]
	s_cbranch_vccnz .LBB3_125
; %bb.70:
	s_movk_i32 s2, 0xffb8
	v_mad_i32_i24 v18, v0, s2, v46
	ds_write_b128 v46, v[38:41]
	ds_write_b128 v46, v[34:37] offset:16
	ds_write_b128 v46, v[30:33] offset:32
	;; [unrolled: 1-line block ×4, first 2 shown]
	s_waitcnt lgkmcnt(0)
	s_barrier
	ds_read2st64_b64 v[2:5], v18 offset1:2
	ds_read2st64_b64 v[10:13], v18 offset0:4 offset1:6
	ds_read2st64_b64 v[6:9], v18 offset0:8 offset1:10
	;; [unrolled: 1-line block ×4, first 2 shown]
	v_mov_b32_e32 v23, s1
	v_add_co_u32_e32 v22, vcc, s0, v44
	v_addc_co_u32_e32 v23, vcc, 0, v23, vcc
	v_mov_b32_e32 v1, 0
	v_cmp_gt_u32_e32 vcc, s24, v0
	s_and_saveexec_b64 s[0:1], vcc
	s_cbranch_execz .LBB3_72
; %bb.71:
	s_waitcnt lgkmcnt(4)
	global_store_dwordx2 v[22:23], v[2:3], off
.LBB3_72:
	s_or_b64 exec, exec, s[0:1]
	v_or_b32_e32 v24, 0x80, v0
	v_cmp_gt_u32_e32 vcc, s24, v24
	s_and_saveexec_b64 s[0:1], vcc
	s_cbranch_execz .LBB3_74
; %bb.73:
	s_waitcnt lgkmcnt(4)
	global_store_dwordx2 v[22:23], v[4:5], off offset:1024
.LBB3_74:
	s_or_b64 exec, exec, s[0:1]
	v_or_b32_e32 v24, 0x100, v0
	v_cmp_gt_u32_e32 vcc, s24, v24
	s_and_saveexec_b64 s[0:1], vcc
	s_cbranch_execz .LBB3_76
; %bb.75:
	s_waitcnt lgkmcnt(3)
	global_store_dwordx2 v[22:23], v[10:11], off offset:2048
.LBB3_76:
	;; [unrolled: 9-line block ×3, first 2 shown]
	s_or_b64 exec, exec, s[0:1]
	v_or_b32_e32 v24, 0x200, v0
	v_cmp_gt_u32_e32 vcc, s24, v24
	s_and_saveexec_b64 s[0:1], vcc
	s_cbranch_execz .LBB3_80
; %bb.79:
	v_add_co_u32_e32 v24, vcc, 0x1000, v22
	v_addc_co_u32_e32 v25, vcc, 0, v23, vcc
	s_waitcnt lgkmcnt(2)
	global_store_dwordx2 v[24:25], v[6:7], off
.LBB3_80:
	s_or_b64 exec, exec, s[0:1]
	v_or_b32_e32 v24, 0x280, v0
	v_cmp_gt_u32_e32 vcc, s24, v24
	s_and_saveexec_b64 s[0:1], vcc
	s_cbranch_execz .LBB3_82
; %bb.81:
	v_add_co_u32_e32 v24, vcc, 0x1000, v22
	v_addc_co_u32_e32 v25, vcc, 0, v23, vcc
	s_waitcnt lgkmcnt(2)
	global_store_dwordx2 v[24:25], v[8:9], off offset:1024
.LBB3_82:
	s_or_b64 exec, exec, s[0:1]
	v_or_b32_e32 v24, 0x300, v0
	v_cmp_gt_u32_e32 vcc, s24, v24
	s_and_saveexec_b64 s[0:1], vcc
	s_cbranch_execz .LBB3_84
; %bb.83:
	v_add_co_u32_e32 v24, vcc, 0x1000, v22
	v_addc_co_u32_e32 v25, vcc, 0, v23, vcc
	s_waitcnt lgkmcnt(1)
	global_store_dwordx2 v[24:25], v[14:15], off offset:2048
.LBB3_84:
	;; [unrolled: 11-line block ×3, first 2 shown]
	s_or_b64 exec, exec, s[0:1]
	v_or_b32_e32 v24, 0x400, v0
	v_cmp_gt_u32_e32 vcc, s24, v24
	s_and_saveexec_b64 s[0:1], vcc
	s_cbranch_execz .LBB3_88
; %bb.87:
	v_add_co_u32_e32 v24, vcc, 0x2000, v22
	v_addc_co_u32_e32 v25, vcc, 0, v23, vcc
	s_waitcnt lgkmcnt(0)
	global_store_dwordx2 v[24:25], v[18:19], off
.LBB3_88:
	s_or_b64 exec, exec, s[0:1]
	v_or_b32_e32 v24, 0x480, v0
	v_cmp_gt_u32_e32 vcc, s24, v24
	s_and_saveexec_b64 s[0:1], vcc
	s_cbranch_execz .LBB3_90
; %bb.89:
	v_add_co_u32_e32 v22, vcc, 0x2000, v22
	v_addc_co_u32_e32 v23, vcc, 0, v23, vcc
	s_waitcnt lgkmcnt(0)
	global_store_dwordx2 v[22:23], v[20:21], off offset:1024
.LBB3_90:
	s_or_b64 exec, exec, s[0:1]
	s_load_dword s0, s[4:5], 0x48
	s_waitcnt lgkmcnt(0)
	s_bfe_u32 s0, s0, 0x10008
	s_cmp_eq_u32 s0, 0
	s_cbranch_scc1 .LBB3_125
; %bb.91:
	s_add_u32 s0, s24, -1
	s_addc_u32 s1, s25, -1
	s_add_u32 s2, 0, 0x99986000
	s_addc_u32 s3, 0, 0x59
	s_add_i32 s3, s3, 0x19999940
	s_mul_hi_u32 s7, s2, -10
	s_sub_i32 s7, s7, s2
	s_mul_i32 s8, s3, -10
	s_mul_i32 s4, s2, -10
	s_add_i32 s7, s7, s8
	s_mul_hi_u32 s5, s3, s4
	s_mul_i32 s6, s3, s4
	s_mul_i32 s9, s2, s7
	s_mul_hi_u32 s4, s2, s4
	s_mul_hi_u32 s8, s2, s7
	s_add_u32 s4, s4, s9
	s_addc_u32 s8, 0, s8
	s_add_u32 s4, s4, s6
	s_mul_hi_u32 s9, s3, s7
	s_addc_u32 s4, s8, s5
	s_addc_u32 s5, s9, 0
	s_mul_i32 s6, s3, s7
	s_add_u32 s4, s4, s6
	v_mov_b32_e32 v22, s4
	s_addc_u32 s5, 0, s5
	v_add_co_u32_e32 v22, vcc, s2, v22
	s_cmp_lg_u64 vcc, 0
	s_addc_u32 s2, s3, s5
	v_readfirstlane_b32 s5, v22
	s_mul_i32 s4, s0, s2
	s_mul_hi_u32 s6, s0, s5
	s_mul_hi_u32 s3, s0, s2
	s_add_u32 s4, s6, s4
	s_addc_u32 s3, 0, s3
	s_mul_hi_u32 s7, s1, s5
	s_mul_i32 s5, s1, s5
	s_add_u32 s4, s4, s5
	s_mul_hi_u32 s6, s1, s2
	s_addc_u32 s3, s3, s7
	s_addc_u32 s4, s6, 0
	s_mul_i32 s2, s1, s2
	s_add_u32 s2, s3, s2
	s_addc_u32 s3, 0, s4
	s_add_u32 s4, s2, 1
	s_addc_u32 s5, s3, 0
	s_add_u32 s6, s2, 2
	s_mul_i32 s8, s3, 10
	s_mul_hi_u32 s9, s2, 10
	s_addc_u32 s7, s3, 0
	s_add_i32 s9, s9, s8
	s_mul_i32 s8, s2, 10
	v_mov_b32_e32 v22, s8
	v_sub_co_u32_e32 v22, vcc, s0, v22
	s_cmp_lg_u64 vcc, 0
	s_subb_u32 s8, s1, s9
	v_subrev_co_u32_e32 v23, vcc, 10, v22
	s_cmp_lg_u64 vcc, 0
	s_subb_u32 s9, s8, 0
	v_readfirstlane_b32 s10, v23
	s_cmp_gt_u32 s10, 9
	s_cselect_b32 s10, -1, 0
	s_cmp_eq_u32 s9, 0
	s_cselect_b32 s9, s10, -1
	s_cmp_lg_u32 s9, 0
	s_cselect_b32 s4, s6, s4
	v_readfirstlane_b32 s6, v22
	s_cselect_b32 s5, s7, s5
	s_cmp_gt_u32 s6, 9
	s_cselect_b32 s6, -1, 0
	s_cmp_eq_u32 s8, 0
	s_cselect_b32 s6, s6, -1
	s_cmp_lg_u32 s6, 0
	s_cselect_b32 s3, s5, s3
	s_cselect_b32 s2, s4, s2
	v_cmp_eq_u64_e32 vcc, s[2:3], v[0:1]
	s_and_saveexec_b64 s[2:3], vcc
	s_cbranch_execz .LBB3_125
; %bb.92:
	v_mul_hi_u32_u24_e32 v1, 10, v0
	v_mov_b32_e32 v22, s1
	v_sub_co_u32_e32 v0, vcc, s0, v45
	v_subb_co_u32_e32 v1, vcc, v22, v1, vcc
	v_cmp_lt_i64_e32 vcc, 4, v[0:1]
	s_and_saveexec_b64 s[0:1], vcc
	s_xor_b64 s[0:1], exec, s[0:1]
	s_cbranch_execz .LBB3_110
; %bb.93:
	v_cmp_lt_i64_e32 vcc, 6, v[0:1]
	s_and_saveexec_b64 s[2:3], vcc
	s_xor_b64 s[2:3], exec, s[2:3]
	s_cbranch_execz .LBB3_103
; %bb.94:
	;; [unrolled: 5-line block ×4, first 2 shown]
	v_mov_b32_e32 v0, 0
	global_store_dwordx2 v0, v[20:21], s[18:19]
                                        ; implicit-def: $vgpr18_vgpr19_vgpr20_vgpr21
.LBB3_97:
	s_andn2_saveexec_b64 s[6:7], s[6:7]
	s_cbranch_execz .LBB3_99
; %bb.98:
	v_mov_b32_e32 v0, 0
	global_store_dwordx2 v0, v[18:19], s[18:19]
.LBB3_99:
	s_or_b64 exec, exec, s[6:7]
                                        ; implicit-def: $vgpr14_vgpr15_vgpr16_vgpr17
.LBB3_100:
	s_andn2_saveexec_b64 s[4:5], s[4:5]
	s_cbranch_execz .LBB3_102
; %bb.101:
	v_mov_b32_e32 v0, 0
	global_store_dwordx2 v0, v[16:17], s[18:19]
.LBB3_102:
	s_or_b64 exec, exec, s[4:5]
                                        ; implicit-def: $vgpr6_vgpr7_vgpr8_vgpr9
                                        ; implicit-def: $vgpr0_vgpr1
                                        ; implicit-def: $vgpr14_vgpr15_vgpr16_vgpr17
.LBB3_103:
	s_andn2_saveexec_b64 s[2:3], s[2:3]
	s_cbranch_execz .LBB3_109
; %bb.104:
	v_cmp_lt_i64_e32 vcc, 5, v[0:1]
	s_and_saveexec_b64 s[4:5], vcc
	s_xor_b64 s[4:5], exec, s[4:5]
	s_cbranch_execz .LBB3_106
; %bb.105:
	v_mov_b32_e32 v0, 0
	global_store_dwordx2 v0, v[14:15], s[18:19]
                                        ; implicit-def: $vgpr6_vgpr7_vgpr8_vgpr9
.LBB3_106:
	s_andn2_saveexec_b64 s[4:5], s[4:5]
	s_cbranch_execz .LBB3_108
; %bb.107:
	v_mov_b32_e32 v0, 0
	global_store_dwordx2 v0, v[8:9], s[18:19]
.LBB3_108:
	s_or_b64 exec, exec, s[4:5]
.LBB3_109:
	s_or_b64 exec, exec, s[2:3]
                                        ; implicit-def: $vgpr0_vgpr1
                                        ; implicit-def: $vgpr10_vgpr11_vgpr12_vgpr13
                                        ; implicit-def: $vgpr2_vgpr3_vgpr4_vgpr5
                                        ; implicit-def: $vgpr6_vgpr7_vgpr8_vgpr9
.LBB3_110:
	s_andn2_saveexec_b64 s[0:1], s[0:1]
	s_cbranch_execz .LBB3_125
; %bb.111:
	v_cmp_lt_i64_e32 vcc, 2, v[0:1]
	s_and_saveexec_b64 s[0:1], vcc
	s_xor_b64 s[0:1], exec, s[0:1]
	s_cbranch_execz .LBB3_117
; %bb.112:
	v_cmp_lt_i64_e32 vcc, 3, v[0:1]
	s_and_saveexec_b64 s[2:3], vcc
	s_xor_b64 s[2:3], exec, s[2:3]
	s_cbranch_execz .LBB3_114
; %bb.113:
	v_mov_b32_e32 v0, 0
	global_store_dwordx2 v0, v[6:7], s[18:19]
                                        ; implicit-def: $vgpr10_vgpr11_vgpr12_vgpr13
.LBB3_114:
	s_andn2_saveexec_b64 s[2:3], s[2:3]
	s_cbranch_execz .LBB3_116
; %bb.115:
	v_mov_b32_e32 v0, 0
	global_store_dwordx2 v0, v[12:13], s[18:19]
.LBB3_116:
	s_or_b64 exec, exec, s[2:3]
                                        ; implicit-def: $vgpr0_vgpr1
                                        ; implicit-def: $vgpr10_vgpr11_vgpr12_vgpr13
                                        ; implicit-def: $vgpr2_vgpr3_vgpr4_vgpr5
.LBB3_117:
	s_andn2_saveexec_b64 s[0:1], s[0:1]
	s_cbranch_execz .LBB3_125
; %bb.118:
	v_cmp_lt_i64_e32 vcc, 1, v[0:1]
	s_and_saveexec_b64 s[0:1], vcc
	s_xor_b64 s[0:1], exec, s[0:1]
	s_cbranch_execz .LBB3_120
; %bb.119:
	v_mov_b32_e32 v0, 0
	global_store_dwordx2 v0, v[10:11], s[18:19]
                                        ; implicit-def: $vgpr2_vgpr3_vgpr4_vgpr5
                                        ; implicit-def: $vgpr0_vgpr1
.LBB3_120:
	s_andn2_saveexec_b64 s[0:1], s[0:1]
	s_cbranch_execz .LBB3_125
; %bb.121:
	v_cmp_ne_u64_e32 vcc, 1, v[0:1]
	s_and_saveexec_b64 s[0:1], vcc
	s_xor_b64 s[0:1], exec, s[0:1]
	s_cbranch_execz .LBB3_123
; %bb.122:
	v_mov_b32_e32 v0, 0
	global_store_dwordx2 v0, v[2:3], s[18:19]
                                        ; implicit-def: $vgpr2_vgpr3_vgpr4_vgpr5
.LBB3_123:
	s_andn2_saveexec_b64 s[0:1], s[0:1]
	s_cbranch_execz .LBB3_125
; %bb.124:
	v_mov_b32_e32 v0, 0
	global_store_dwordx2 v0, v[4:5], s[18:19]
.LBB3_125:
	s_endpgm
	.section	.rodata,"a",@progbits
	.p2align	6, 0x0
	.amdhsa_kernel _ZN7rocprim6detail20lookback_scan_kernelILNS0_25lookback_scan_determinismE0ELb1ENS0_19wrapped_scan_configINS_14default_configEdEEPdS6_N4RAJA9operators4plusIdddEEddNS0_19lookback_scan_stateIdLb0ELb1EEEEEvT2_T3_mT5_T4_T7_jPT6_SJ_bb
		.amdhsa_group_segment_fixed_size 10240
		.amdhsa_private_segment_fixed_size 0
		.amdhsa_kernarg_size 76
		.amdhsa_user_sgpr_count 6
		.amdhsa_user_sgpr_private_segment_buffer 1
		.amdhsa_user_sgpr_dispatch_ptr 0
		.amdhsa_user_sgpr_queue_ptr 0
		.amdhsa_user_sgpr_kernarg_segment_ptr 1
		.amdhsa_user_sgpr_dispatch_id 0
		.amdhsa_user_sgpr_flat_scratch_init 0
		.amdhsa_user_sgpr_kernarg_preload_length 0
		.amdhsa_user_sgpr_kernarg_preload_offset 0
		.amdhsa_user_sgpr_private_segment_size 0
		.amdhsa_uses_dynamic_stack 0
		.amdhsa_system_sgpr_private_segment_wavefront_offset 0
		.amdhsa_system_sgpr_workgroup_id_x 1
		.amdhsa_system_sgpr_workgroup_id_y 0
		.amdhsa_system_sgpr_workgroup_id_z 0
		.amdhsa_system_sgpr_workgroup_info 0
		.amdhsa_system_vgpr_workitem_id 0
		.amdhsa_next_free_vgpr 59
		.amdhsa_next_free_sgpr 68
		.amdhsa_accum_offset 60
		.amdhsa_reserve_vcc 1
		.amdhsa_reserve_flat_scratch 0
		.amdhsa_float_round_mode_32 0
		.amdhsa_float_round_mode_16_64 0
		.amdhsa_float_denorm_mode_32 3
		.amdhsa_float_denorm_mode_16_64 3
		.amdhsa_dx10_clamp 1
		.amdhsa_ieee_mode 1
		.amdhsa_fp16_overflow 0
		.amdhsa_tg_split 0
		.amdhsa_exception_fp_ieee_invalid_op 0
		.amdhsa_exception_fp_denorm_src 0
		.amdhsa_exception_fp_ieee_div_zero 0
		.amdhsa_exception_fp_ieee_overflow 0
		.amdhsa_exception_fp_ieee_underflow 0
		.amdhsa_exception_fp_ieee_inexact 0
		.amdhsa_exception_int_div_zero 0
	.end_amdhsa_kernel
	.section	.text._ZN7rocprim6detail20lookback_scan_kernelILNS0_25lookback_scan_determinismE0ELb1ENS0_19wrapped_scan_configINS_14default_configEdEEPdS6_N4RAJA9operators4plusIdddEEddNS0_19lookback_scan_stateIdLb0ELb1EEEEEvT2_T3_mT5_T4_T7_jPT6_SJ_bb,"axG",@progbits,_ZN7rocprim6detail20lookback_scan_kernelILNS0_25lookback_scan_determinismE0ELb1ENS0_19wrapped_scan_configINS_14default_configEdEEPdS6_N4RAJA9operators4plusIdddEEddNS0_19lookback_scan_stateIdLb0ELb1EEEEEvT2_T3_mT5_T4_T7_jPT6_SJ_bb,comdat
.Lfunc_end3:
	.size	_ZN7rocprim6detail20lookback_scan_kernelILNS0_25lookback_scan_determinismE0ELb1ENS0_19wrapped_scan_configINS_14default_configEdEEPdS6_N4RAJA9operators4plusIdddEEddNS0_19lookback_scan_stateIdLb0ELb1EEEEEvT2_T3_mT5_T4_T7_jPT6_SJ_bb, .Lfunc_end3-_ZN7rocprim6detail20lookback_scan_kernelILNS0_25lookback_scan_determinismE0ELb1ENS0_19wrapped_scan_configINS_14default_configEdEEPdS6_N4RAJA9operators4plusIdddEEddNS0_19lookback_scan_stateIdLb0ELb1EEEEEvT2_T3_mT5_T4_T7_jPT6_SJ_bb
                                        ; -- End function
	.section	.AMDGPU.csdata,"",@progbits
; Kernel info:
; codeLenInByte = 5424
; NumSgprs: 72
; NumVgprs: 59
; NumAgprs: 0
; TotalNumVgprs: 59
; ScratchSize: 0
; MemoryBound: 1
; FloatMode: 240
; IeeeMode: 1
; LDSByteSize: 10240 bytes/workgroup (compile time only)
; SGPRBlocks: 8
; VGPRBlocks: 7
; NumSGPRsForWavesPerEU: 72
; NumVGPRsForWavesPerEU: 59
; AccumOffset: 60
; Occupancy: 3
; WaveLimiterHint : 1
; COMPUTE_PGM_RSRC2:SCRATCH_EN: 0
; COMPUTE_PGM_RSRC2:USER_SGPR: 6
; COMPUTE_PGM_RSRC2:TRAP_HANDLER: 0
; COMPUTE_PGM_RSRC2:TGID_X_EN: 1
; COMPUTE_PGM_RSRC2:TGID_Y_EN: 0
; COMPUTE_PGM_RSRC2:TGID_Z_EN: 0
; COMPUTE_PGM_RSRC2:TIDIG_COMP_CNT: 0
; COMPUTE_PGM_RSRC3_GFX90A:ACCUM_OFFSET: 14
; COMPUTE_PGM_RSRC3_GFX90A:TG_SPLIT: 0
	.section	.text._ZN7rocprim6detail16transform_kernelINS0_24wrapped_transform_configINS_14default_configEdEEdPdS5_NS_8identityIdEEEEvT1_mT2_T3_,"axG",@progbits,_ZN7rocprim6detail16transform_kernelINS0_24wrapped_transform_configINS_14default_configEdEEdPdS5_NS_8identityIdEEEEvT1_mT2_T3_,comdat
	.protected	_ZN7rocprim6detail16transform_kernelINS0_24wrapped_transform_configINS_14default_configEdEEdPdS5_NS_8identityIdEEEEvT1_mT2_T3_ ; -- Begin function _ZN7rocprim6detail16transform_kernelINS0_24wrapped_transform_configINS_14default_configEdEEdPdS5_NS_8identityIdEEEEvT1_mT2_T3_
	.globl	_ZN7rocprim6detail16transform_kernelINS0_24wrapped_transform_configINS_14default_configEdEEdPdS5_NS_8identityIdEEEEvT1_mT2_T3_
	.p2align	8
	.type	_ZN7rocprim6detail16transform_kernelINS0_24wrapped_transform_configINS_14default_configEdEEdPdS5_NS_8identityIdEEEEvT1_mT2_T3_,@function
_ZN7rocprim6detail16transform_kernelINS0_24wrapped_transform_configINS_14default_configEdEEdPdS5_NS_8identityIdEEEEvT1_mT2_T3_: ; @_ZN7rocprim6detail16transform_kernelINS0_24wrapped_transform_configINS_14default_configEdEEdPdS5_NS_8identityIdEEEEvT1_mT2_T3_
; %bb.0:
	s_load_dword s7, s[4:5], 0x20
	s_load_dwordx4 s[0:3], s[4:5], 0x0
	s_load_dwordx2 s[8:9], s[4:5], 0x10
	s_lshl_b32 s10, s6, 9
	s_mov_b32 s11, 0
	s_waitcnt lgkmcnt(0)
	s_add_i32 s7, s7, -1
	s_lshl_b64 s[4:5], s[10:11], 3
	s_add_u32 s0, s0, s4
	s_addc_u32 s1, s1, s5
	v_lshlrev_b32_e32 v1, 3, v0
	v_mov_b32_e32 v2, s1
	v_add_co_u32_e32 v6, vcc, s0, v1
	s_cmp_lg_u32 s6, s7
	v_addc_co_u32_e32 v7, vcc, 0, v2, vcc
	s_cbranch_scc0 .LBB4_2
; %bb.1:
	global_load_dwordx2 v[2:3], v[6:7], off
	global_load_dwordx2 v[4:5], v[6:7], off offset:2048
	s_add_u32 s6, s8, s4
	s_addc_u32 s7, s9, s5
	s_waitcnt vmcnt(1)
	global_store_dwordx2 v1, v[2:3], s[6:7]
	s_mov_b64 s[6:7], -1
	s_cbranch_execz .LBB4_3
	s_branch .LBB4_10
.LBB4_2:
	s_mov_b64 s[6:7], 0
                                        ; implicit-def: $vgpr4_vgpr5
.LBB4_3:
	s_sub_i32 s2, s2, s10
	v_cmp_gt_u32_e32 vcc, s2, v0
                                        ; implicit-def: $vgpr2_vgpr3_vgpr4_vgpr5
	s_and_saveexec_b64 s[0:1], vcc
	s_cbranch_execz .LBB4_5
; %bb.4:
	global_load_dwordx2 v[2:3], v[6:7], off
.LBB4_5:
	s_or_b64 exec, exec, s[0:1]
	v_or_b32_e32 v0, 0x100, v0
	v_cmp_gt_u32_e64 s[0:1], s2, v0
	s_and_saveexec_b64 s[2:3], s[0:1]
	s_cbranch_execnz .LBB4_13
; %bb.6:
	s_or_b64 exec, exec, s[2:3]
	s_and_saveexec_b64 s[2:3], vcc
	s_cbranch_execnz .LBB4_14
.LBB4_7:
	s_or_b64 exec, exec, s[2:3]
	s_and_saveexec_b64 s[2:3], s[0:1]
.LBB4_8:
	s_or_b64 s[6:7], s[6:7], exec
.LBB4_9:
	s_or_b64 exec, exec, s[2:3]
.LBB4_10:
	s_and_saveexec_b64 s[0:1], s[6:7]
	s_cbranch_execnz .LBB4_12
; %bb.11:
	s_endpgm
.LBB4_12:
	s_add_u32 s0, s8, s4
	s_addc_u32 s1, s9, s5
	s_waitcnt vmcnt(0)
	global_store_dwordx2 v1, v[4:5], s[0:1] offset:2048
	s_endpgm
.LBB4_13:
	global_load_dwordx2 v[4:5], v[6:7], off offset:2048
	s_or_b64 exec, exec, s[2:3]
	s_and_saveexec_b64 s[2:3], vcc
	s_cbranch_execz .LBB4_7
.LBB4_14:
	s_add_u32 s10, s8, s4
	s_addc_u32 s11, s9, s5
	s_waitcnt vmcnt(0)
	global_store_dwordx2 v1, v[2:3], s[10:11]
	s_or_b64 exec, exec, s[2:3]
	s_and_saveexec_b64 s[2:3], s[0:1]
	s_cbranch_execnz .LBB4_8
	s_branch .LBB4_9
	.section	.rodata,"a",@progbits
	.p2align	6, 0x0
	.amdhsa_kernel _ZN7rocprim6detail16transform_kernelINS0_24wrapped_transform_configINS_14default_configEdEEdPdS5_NS_8identityIdEEEEvT1_mT2_T3_
		.amdhsa_group_segment_fixed_size 0
		.amdhsa_private_segment_fixed_size 0
		.amdhsa_kernarg_size 288
		.amdhsa_user_sgpr_count 6
		.amdhsa_user_sgpr_private_segment_buffer 1
		.amdhsa_user_sgpr_dispatch_ptr 0
		.amdhsa_user_sgpr_queue_ptr 0
		.amdhsa_user_sgpr_kernarg_segment_ptr 1
		.amdhsa_user_sgpr_dispatch_id 0
		.amdhsa_user_sgpr_flat_scratch_init 0
		.amdhsa_user_sgpr_kernarg_preload_length 0
		.amdhsa_user_sgpr_kernarg_preload_offset 0
		.amdhsa_user_sgpr_private_segment_size 0
		.amdhsa_uses_dynamic_stack 0
		.amdhsa_system_sgpr_private_segment_wavefront_offset 0
		.amdhsa_system_sgpr_workgroup_id_x 1
		.amdhsa_system_sgpr_workgroup_id_y 0
		.amdhsa_system_sgpr_workgroup_id_z 0
		.amdhsa_system_sgpr_workgroup_info 0
		.amdhsa_system_vgpr_workitem_id 0
		.amdhsa_next_free_vgpr 8
		.amdhsa_next_free_sgpr 12
		.amdhsa_accum_offset 8
		.amdhsa_reserve_vcc 1
		.amdhsa_reserve_flat_scratch 0
		.amdhsa_float_round_mode_32 0
		.amdhsa_float_round_mode_16_64 0
		.amdhsa_float_denorm_mode_32 3
		.amdhsa_float_denorm_mode_16_64 3
		.amdhsa_dx10_clamp 1
		.amdhsa_ieee_mode 1
		.amdhsa_fp16_overflow 0
		.amdhsa_tg_split 0
		.amdhsa_exception_fp_ieee_invalid_op 0
		.amdhsa_exception_fp_denorm_src 0
		.amdhsa_exception_fp_ieee_div_zero 0
		.amdhsa_exception_fp_ieee_overflow 0
		.amdhsa_exception_fp_ieee_underflow 0
		.amdhsa_exception_fp_ieee_inexact 0
		.amdhsa_exception_int_div_zero 0
	.end_amdhsa_kernel
	.section	.text._ZN7rocprim6detail16transform_kernelINS0_24wrapped_transform_configINS_14default_configEdEEdPdS5_NS_8identityIdEEEEvT1_mT2_T3_,"axG",@progbits,_ZN7rocprim6detail16transform_kernelINS0_24wrapped_transform_configINS_14default_configEdEEdPdS5_NS_8identityIdEEEEvT1_mT2_T3_,comdat
.Lfunc_end4:
	.size	_ZN7rocprim6detail16transform_kernelINS0_24wrapped_transform_configINS_14default_configEdEEdPdS5_NS_8identityIdEEEEvT1_mT2_T3_, .Lfunc_end4-_ZN7rocprim6detail16transform_kernelINS0_24wrapped_transform_configINS_14default_configEdEEdPdS5_NS_8identityIdEEEEvT1_mT2_T3_
                                        ; -- End function
	.section	.AMDGPU.csdata,"",@progbits
; Kernel info:
; codeLenInByte = 300
; NumSgprs: 16
; NumVgprs: 8
; NumAgprs: 0
; TotalNumVgprs: 8
; ScratchSize: 0
; MemoryBound: 1
; FloatMode: 240
; IeeeMode: 1
; LDSByteSize: 0 bytes/workgroup (compile time only)
; SGPRBlocks: 1
; VGPRBlocks: 0
; NumSGPRsForWavesPerEU: 16
; NumVGPRsForWavesPerEU: 8
; AccumOffset: 8
; Occupancy: 8
; WaveLimiterHint : 1
; COMPUTE_PGM_RSRC2:SCRATCH_EN: 0
; COMPUTE_PGM_RSRC2:USER_SGPR: 6
; COMPUTE_PGM_RSRC2:TRAP_HANDLER: 0
; COMPUTE_PGM_RSRC2:TGID_X_EN: 1
; COMPUTE_PGM_RSRC2:TGID_Y_EN: 0
; COMPUTE_PGM_RSRC2:TGID_Z_EN: 0
; COMPUTE_PGM_RSRC2:TIDIG_COMP_CNT: 0
; COMPUTE_PGM_RSRC3_GFX90A:ACCUM_OFFSET: 1
; COMPUTE_PGM_RSRC3_GFX90A:TG_SPLIT: 0
	.section	.text._ZN7rocprim6detail18single_scan_kernelILb1ENS0_19wrapped_scan_configINS_14default_configEdEEPdS5_N4RAJA9operators4plusIdddEEddEEvT1_mT4_T2_T3_,"axG",@progbits,_ZN7rocprim6detail18single_scan_kernelILb1ENS0_19wrapped_scan_configINS_14default_configEdEEPdS5_N4RAJA9operators4plusIdddEEddEEvT1_mT4_T2_T3_,comdat
	.protected	_ZN7rocprim6detail18single_scan_kernelILb1ENS0_19wrapped_scan_configINS_14default_configEdEEPdS5_N4RAJA9operators4plusIdddEEddEEvT1_mT4_T2_T3_ ; -- Begin function _ZN7rocprim6detail18single_scan_kernelILb1ENS0_19wrapped_scan_configINS_14default_configEdEEPdS5_N4RAJA9operators4plusIdddEEddEEvT1_mT4_T2_T3_
	.globl	_ZN7rocprim6detail18single_scan_kernelILb1ENS0_19wrapped_scan_configINS_14default_configEdEEPdS5_N4RAJA9operators4plusIdddEEddEEvT1_mT4_T2_T3_
	.p2align	8
	.type	_ZN7rocprim6detail18single_scan_kernelILb1ENS0_19wrapped_scan_configINS_14default_configEdEEPdS5_N4RAJA9operators4plusIdddEEddEEvT1_mT4_T2_T3_,@function
_ZN7rocprim6detail18single_scan_kernelILb1ENS0_19wrapped_scan_configINS_14default_configEdEEPdS5_N4RAJA9operators4plusIdddEEddEEvT1_mT4_T2_T3_: ; @_ZN7rocprim6detail18single_scan_kernelILb1ENS0_19wrapped_scan_configINS_14default_configEdEEPdS5_N4RAJA9operators4plusIdddEEddEEvT1_mT4_T2_T3_
; %bb.0:
	s_load_dwordx8 s[20:27], s[4:5], 0x0
	v_lshlrev_b32_e32 v36, 3, v0
	s_waitcnt lgkmcnt(0)
	s_load_dwordx2 s[36:37], s[20:21], 0x0
	v_mov_b32_e32 v1, s21
	v_add_co_u32_e32 v34, vcc, s20, v36
	v_addc_co_u32_e32 v35, vcc, 0, v1, vcc
	s_waitcnt lgkmcnt(0)
	s_mov_b32 s38, s36
	s_mov_b32 s39, s37
	;; [unrolled: 1-line block ×18, first 2 shown]
	v_pk_mov_b32 v[2:3], s[36:37], s[36:37] op_sel:[0,1]
	v_cmp_gt_u32_e64 s[0:1], s22, v0
	v_pk_mov_b32 v[4:5], s[38:39], s[38:39] op_sel:[0,1]
	v_pk_mov_b32 v[6:7], s[40:41], s[40:41] op_sel:[0,1]
	;; [unrolled: 1-line block ×15, first 2 shown]
	s_and_saveexec_b64 s[2:3], s[0:1]
	s_cbranch_execz .LBB5_2
; %bb.1:
	global_load_dwordx2 v[2:3], v[34:35], off
	v_mov_b32_e32 v4, s36
	v_mov_b32_e32 v5, s37
	;; [unrolled: 1-line block ×18, first 2 shown]
.LBB5_2:
	s_or_b64 exec, exec, s[2:3]
	v_or_b32_e32 v1, 0x80, v0
	v_cmp_gt_u32_e64 s[2:3], s22, v1
	s_and_saveexec_b64 s[4:5], s[2:3]
	s_cbranch_execz .LBB5_4
; %bb.3:
	global_load_dwordx2 v[4:5], v[34:35], off offset:1024
.LBB5_4:
	s_or_b64 exec, exec, s[4:5]
	v_or_b32_e32 v1, 0x100, v0
	v_cmp_gt_u32_e64 s[4:5], s22, v1
	s_and_saveexec_b64 s[6:7], s[4:5]
	s_cbranch_execz .LBB5_6
; %bb.5:
	global_load_dwordx2 v[6:7], v[34:35], off offset:2048
.LBB5_6:
	;; [unrolled: 8-line block ×3, first 2 shown]
	s_or_b64 exec, exec, s[8:9]
	v_or_b32_e32 v1, 0x200, v0
	v_cmp_gt_u32_e64 s[8:9], s22, v1
	s_and_saveexec_b64 s[10:11], s[8:9]
	s_cbranch_execz .LBB5_10
; %bb.9:
	v_add_co_u32_e32 v10, vcc, 0x1000, v34
	v_addc_co_u32_e32 v11, vcc, 0, v35, vcc
	global_load_dwordx2 v[10:11], v[10:11], off
.LBB5_10:
	s_or_b64 exec, exec, s[10:11]
	v_or_b32_e32 v1, 0x280, v0
	v_cmp_gt_u32_e64 s[10:11], s22, v1
	s_and_saveexec_b64 s[12:13], s[10:11]
	s_cbranch_execz .LBB5_12
; %bb.11:
	v_add_co_u32_e32 v12, vcc, 0x1000, v34
	v_addc_co_u32_e32 v13, vcc, 0, v35, vcc
	global_load_dwordx2 v[12:13], v[12:13], off offset:1024
.LBB5_12:
	s_or_b64 exec, exec, s[12:13]
	v_or_b32_e32 v1, 0x300, v0
	v_cmp_gt_u32_e64 s[12:13], s22, v1
	s_and_saveexec_b64 s[14:15], s[12:13]
	s_cbranch_execz .LBB5_14
; %bb.13:
	v_add_co_u32_e32 v14, vcc, 0x1000, v34
	v_addc_co_u32_e32 v15, vcc, 0, v35, vcc
	global_load_dwordx2 v[14:15], v[14:15], off offset:2048
.LBB5_14:
	;; [unrolled: 10-line block ×3, first 2 shown]
	s_or_b64 exec, exec, s[16:17]
	v_or_b32_e32 v1, 0x400, v0
	v_cmp_gt_u32_e64 s[16:17], s22, v1
	s_and_saveexec_b64 s[18:19], s[16:17]
	s_cbranch_execz .LBB5_18
; %bb.17:
	v_add_co_u32_e32 v18, vcc, 0x2000, v34
	v_addc_co_u32_e32 v19, vcc, 0, v35, vcc
	global_load_dwordx2 v[18:19], v[18:19], off
.LBB5_18:
	s_or_b64 exec, exec, s[18:19]
	v_or_b32_e32 v1, 0x480, v0
	v_cmp_gt_u32_e64 s[18:19], s22, v1
	s_and_saveexec_b64 s[20:21], s[18:19]
	s_cbranch_execz .LBB5_20
; %bb.19:
	v_add_co_u32_e32 v20, vcc, 0x2000, v34
	v_addc_co_u32_e32 v21, vcc, 0, v35, vcc
	global_load_dwordx2 v[20:21], v[20:21], off offset:1024
.LBB5_20:
	s_or_b64 exec, exec, s[20:21]
	s_movk_i32 s20, 0x48
	v_mad_u32_u24 v1, v0, s20, v36
	s_waitcnt vmcnt(0)
	ds_write2st64_b64 v36, v[2:3], v[4:5] offset1:2
	ds_write2st64_b64 v36, v[6:7], v[8:9] offset0:4 offset1:6
	ds_write2st64_b64 v36, v[10:11], v[12:13] offset0:8 offset1:10
	;; [unrolled: 1-line block ×4, first 2 shown]
	s_waitcnt lgkmcnt(0)
	s_barrier
	ds_read_b128 v[14:17], v1
	ds_read_b128 v[10:13], v1 offset:16
	ds_read_b128 v[6:9], v1 offset:32
	;; [unrolled: 1-line block ×4, first 2 shown]
	s_waitcnt lgkmcnt(4)
	v_add_f64 v[22:23], v[14:15], v[16:17]
	s_waitcnt lgkmcnt(3)
	v_add_f64 v[22:23], v[22:23], v[10:11]
	v_add_f64 v[22:23], v[22:23], v[12:13]
	s_waitcnt lgkmcnt(2)
	v_add_f64 v[22:23], v[22:23], v[6:7]
	;; [unrolled: 3-line block ×4, first 2 shown]
	v_add_f64 v[20:21], v[22:23], v[20:21]
	v_mbcnt_lo_u32_b32 v22, -1, 0
	v_mbcnt_hi_u32_b32 v28, -1, v22
	v_and_b32_e32 v26, 15, v28
	v_mov_b32_dpp v22, v20 row_shr:1 row_mask:0xf bank_mask:0xf
	v_mov_b32_dpp v23, v21 row_shr:1 row_mask:0xf bank_mask:0xf
	v_add_f64 v[22:23], v[20:21], v[22:23]
	v_cmp_eq_u32_e32 vcc, 0, v26
	v_cndmask_b32_e32 v22, v22, v20, vcc
	v_cndmask_b32_e32 v23, v23, v21, vcc
	v_cmp_lt_u32_e32 vcc, 1, v26
	v_mov_b32_dpp v24, v22 row_shr:2 row_mask:0xf bank_mask:0xf
	v_mov_b32_dpp v25, v23 row_shr:2 row_mask:0xf bank_mask:0xf
	v_add_f64 v[24:25], v[22:23], v[24:25]
	v_cndmask_b32_e32 v22, v22, v24, vcc
	v_cndmask_b32_e32 v23, v23, v25, vcc
	v_cmp_lt_u32_e32 vcc, 3, v26
	v_mov_b32_dpp v24, v22 row_shr:4 row_mask:0xf bank_mask:0xf
	v_mov_b32_dpp v25, v23 row_shr:4 row_mask:0xf bank_mask:0xf
	v_add_f64 v[24:25], v[22:23], v[24:25]
	;; [unrolled: 6-line block ×3, first 2 shown]
	v_cndmask_b32_e32 v22, v22, v24, vcc
	v_cndmask_b32_e32 v23, v23, v25, vcc
	v_and_b32_e32 v29, 16, v28
	v_mov_b32_dpp v24, v22 row_bcast:15 row_mask:0xf bank_mask:0xf
	v_mov_b32_dpp v25, v23 row_bcast:15 row_mask:0xf bank_mask:0xf
	v_add_f64 v[26:27], v[22:23], v[24:25]
	v_cmp_eq_u32_e64 s[20:21], 0, v29
	v_cndmask_b32_e64 v25, v27, v23, s[20:21]
	v_cndmask_b32_e64 v24, v26, v22, s[20:21]
	v_cmp_eq_u32_e32 vcc, 0, v28
	v_mov_b32_dpp v25, v25 row_bcast:31 row_mask:0xf bank_mask:0xf
	v_mov_b32_dpp v24, v24 row_bcast:31 row_mask:0xf bank_mask:0xf
	v_cmp_ne_u32_e64 s[22:23], 0, v28
	s_barrier
	s_and_saveexec_b64 s[28:29], s[22:23]
; %bb.21:
	v_cndmask_b32_e64 v21, v27, v23, s[20:21]
	v_cndmask_b32_e64 v20, v26, v22, s[20:21]
	v_add_f64 v[22:23], v[20:21], v[24:25]
	v_cmp_lt_u32_e64 s[20:21], 31, v28
	v_cndmask_b32_e64 v21, v21, v23, s[20:21]
	v_cndmask_b32_e64 v20, v20, v22, s[20:21]
; %bb.22:
	s_or_b64 exec, exec, s[28:29]
	v_or_b32_e32 v22, 63, v0
	v_lshrrev_b32_e32 v24, 6, v0
	v_cmp_eq_u32_e64 s[20:21], v22, v0
	s_and_saveexec_b64 s[22:23], s[20:21]
	s_cbranch_execz .LBB5_24
; %bb.23:
	v_lshlrev_b32_e32 v22, 3, v24
	ds_write_b64 v22, v[20:21]
.LBB5_24:
	s_or_b64 exec, exec, s[22:23]
	v_cmp_gt_u32_e64 s[20:21], 2, v0
	s_waitcnt lgkmcnt(0)
	s_barrier
	s_and_saveexec_b64 s[22:23], s[20:21]
	s_cbranch_execz .LBB5_26
; %bb.25:
	ds_read_b64 v[22:23], v36
	v_and_b32_e32 v25, 1, v28
	v_cmp_eq_u32_e64 s[20:21], 0, v25
	s_waitcnt lgkmcnt(0)
	v_mov_b32_dpp v26, v22 row_shr:1 row_mask:0xf bank_mask:0xf
	v_mov_b32_dpp v27, v23 row_shr:1 row_mask:0xf bank_mask:0xf
	v_add_f64 v[26:27], v[22:23], v[26:27]
	v_cndmask_b32_e64 v23, v27, v23, s[20:21]
	v_cndmask_b32_e64 v22, v26, v22, s[20:21]
	ds_write_b64 v36, v[22:23]
.LBB5_26:
	s_or_b64 exec, exec, s[22:23]
	v_cmp_lt_u32_e64 s[20:21], 63, v0
	v_pk_mov_b32 v[22:23], s[24:25], s[24:25] op_sel:[0,1]
	s_waitcnt lgkmcnt(0)
	s_barrier
	s_and_saveexec_b64 s[22:23], s[20:21]
	s_cbranch_execz .LBB5_28
; %bb.27:
	v_lshl_add_u32 v22, v24, 3, -8
	ds_read_b64 v[22:23], v22
	s_waitcnt lgkmcnt(0)
	v_add_f64 v[22:23], v[22:23], s[24:25]
.LBB5_28:
	s_or_b64 exec, exec, s[22:23]
	v_add_u32_e32 v24, -1, v28
	v_and_b32_e32 v25, 64, v28
	v_cmp_lt_i32_e64 s[20:21], v24, v25
	v_cndmask_b32_e64 v24, v24, v28, s[20:21]
	v_add_f64 v[20:21], v[20:21], v[22:23]
	v_lshlrev_b32_e32 v24, 2, v24
	ds_bpermute_b32 v20, v24, v20
	ds_bpermute_b32 v21, v24, v21
	s_movk_i32 s20, 0xffb8
	s_waitcnt lgkmcnt(0)
	s_barrier
	v_cndmask_b32_e32 v20, v20, v22, vcc
	v_cndmask_b32_e32 v21, v21, v23, vcc
	v_mov_b32_e32 v22, s25
	v_cmp_eq_u32_e32 vcc, 0, v0
	v_cndmask_b32_e32 v21, v21, v22, vcc
	v_mov_b32_e32 v22, s24
	v_cndmask_b32_e32 v20, v20, v22, vcc
	v_add_f64 v[22:23], v[14:15], v[20:21]
	v_add_f64 v[14:15], v[16:17], v[22:23]
	;; [unrolled: 1-line block ×9, first 2 shown]
	v_mad_i32_i24 v0, v0, s20, v1
	ds_write_b128 v1, v[20:23]
	ds_write_b128 v1, v[14:17] offset:16
	ds_write_b128 v1, v[10:13] offset:32
	;; [unrolled: 1-line block ×4, first 2 shown]
	s_waitcnt lgkmcnt(0)
	s_barrier
	ds_read2st64_b64 v[12:15], v0 offset0:2 offset1:4
	ds_read2st64_b64 v[8:11], v0 offset0:6 offset1:8
	;; [unrolled: 1-line block ×4, first 2 shown]
	ds_read_b64 v[18:19], v36 offset:8192
	v_mov_b32_e32 v17, s27
	v_add_co_u32_e32 v16, vcc, s26, v36
	v_addc_co_u32_e32 v17, vcc, 0, v17, vcc
	s_and_saveexec_b64 s[20:21], s[0:1]
	s_cbranch_execnz .LBB5_39
; %bb.29:
	s_or_b64 exec, exec, s[20:21]
	s_and_saveexec_b64 s[0:1], s[2:3]
	s_cbranch_execnz .LBB5_40
.LBB5_30:
	s_or_b64 exec, exec, s[0:1]
	s_and_saveexec_b64 s[0:1], s[4:5]
	s_cbranch_execnz .LBB5_41
.LBB5_31:
	s_or_b64 exec, exec, s[0:1]
	s_and_saveexec_b64 s[0:1], s[6:7]
	s_cbranch_execnz .LBB5_42
.LBB5_32:
	s_or_b64 exec, exec, s[0:1]
	s_and_saveexec_b64 s[0:1], s[8:9]
	s_cbranch_execnz .LBB5_43
.LBB5_33:
	s_or_b64 exec, exec, s[0:1]
	s_and_saveexec_b64 s[0:1], s[10:11]
	s_cbranch_execnz .LBB5_44
.LBB5_34:
	s_or_b64 exec, exec, s[0:1]
	s_and_saveexec_b64 s[0:1], s[12:13]
	s_cbranch_execnz .LBB5_45
.LBB5_35:
	s_or_b64 exec, exec, s[0:1]
	s_and_saveexec_b64 s[0:1], s[14:15]
	s_cbranch_execnz .LBB5_46
.LBB5_36:
	s_or_b64 exec, exec, s[0:1]
	s_and_saveexec_b64 s[0:1], s[16:17]
	s_cbranch_execnz .LBB5_47
.LBB5_37:
	s_or_b64 exec, exec, s[0:1]
	s_and_saveexec_b64 s[0:1], s[18:19]
	s_cbranch_execnz .LBB5_48
.LBB5_38:
	s_endpgm
.LBB5_39:
	ds_read_b64 v[20:21], v36
	s_waitcnt lgkmcnt(0)
	global_store_dwordx2 v[16:17], v[20:21], off
	s_or_b64 exec, exec, s[20:21]
	s_and_saveexec_b64 s[0:1], s[2:3]
	s_cbranch_execz .LBB5_30
.LBB5_40:
	s_waitcnt lgkmcnt(4)
	global_store_dwordx2 v[16:17], v[12:13], off offset:1024
	s_or_b64 exec, exec, s[0:1]
	s_and_saveexec_b64 s[0:1], s[4:5]
	s_cbranch_execz .LBB5_31
.LBB5_41:
	s_waitcnt lgkmcnt(4)
	global_store_dwordx2 v[16:17], v[14:15], off offset:2048
	s_or_b64 exec, exec, s[0:1]
	s_and_saveexec_b64 s[0:1], s[6:7]
	s_cbranch_execz .LBB5_32
.LBB5_42:
	s_waitcnt lgkmcnt(3)
	global_store_dwordx2 v[16:17], v[8:9], off offset:3072
	s_or_b64 exec, exec, s[0:1]
	s_and_saveexec_b64 s[0:1], s[8:9]
	s_cbranch_execz .LBB5_33
.LBB5_43:
	s_waitcnt lgkmcnt(3)
	v_add_co_u32_e32 v8, vcc, 0x1000, v16
	v_addc_co_u32_e32 v9, vcc, 0, v17, vcc
	global_store_dwordx2 v[8:9], v[10:11], off
	s_or_b64 exec, exec, s[0:1]
	s_and_saveexec_b64 s[0:1], s[10:11]
	s_cbranch_execz .LBB5_34
.LBB5_44:
	s_waitcnt lgkmcnt(3)
	v_add_co_u32_e32 v8, vcc, 0x1000, v16
	v_addc_co_u32_e32 v9, vcc, 0, v17, vcc
	s_waitcnt lgkmcnt(2)
	global_store_dwordx2 v[8:9], v[4:5], off offset:1024
	s_or_b64 exec, exec, s[0:1]
	s_and_saveexec_b64 s[0:1], s[12:13]
	s_cbranch_execz .LBB5_35
.LBB5_45:
	s_waitcnt lgkmcnt(2)
	v_add_co_u32_e32 v4, vcc, 0x1000, v16
	v_addc_co_u32_e32 v5, vcc, 0, v17, vcc
	global_store_dwordx2 v[4:5], v[6:7], off offset:2048
	s_or_b64 exec, exec, s[0:1]
	s_and_saveexec_b64 s[0:1], s[14:15]
	s_cbranch_execz .LBB5_36
.LBB5_46:
	s_waitcnt lgkmcnt(2)
	v_add_co_u32_e32 v4, vcc, 0x1000, v16
	v_addc_co_u32_e32 v5, vcc, 0, v17, vcc
	s_waitcnt lgkmcnt(1)
	global_store_dwordx2 v[4:5], v[0:1], off offset:3072
	s_or_b64 exec, exec, s[0:1]
	s_and_saveexec_b64 s[0:1], s[16:17]
	s_cbranch_execz .LBB5_37
.LBB5_47:
	s_waitcnt lgkmcnt(1)
	v_add_co_u32_e32 v0, vcc, 0x2000, v16
	v_addc_co_u32_e32 v1, vcc, 0, v17, vcc
	s_waitcnt lgkmcnt(0)
	global_store_dwordx2 v[0:1], v[18:19], off
	s_or_b64 exec, exec, s[0:1]
	s_and_saveexec_b64 s[0:1], s[18:19]
	s_cbranch_execz .LBB5_38
.LBB5_48:
	s_waitcnt lgkmcnt(1)
	v_add_co_u32_e32 v0, vcc, 0x2000, v16
	v_addc_co_u32_e32 v1, vcc, 0, v17, vcc
	global_store_dwordx2 v[0:1], v[2:3], off offset:1024
	s_endpgm
	.section	.rodata,"a",@progbits
	.p2align	6, 0x0
	.amdhsa_kernel _ZN7rocprim6detail18single_scan_kernelILb1ENS0_19wrapped_scan_configINS_14default_configEdEEPdS5_N4RAJA9operators4plusIdddEEddEEvT1_mT4_T2_T3_
		.amdhsa_group_segment_fixed_size 10240
		.amdhsa_private_segment_fixed_size 0
		.amdhsa_kernarg_size 36
		.amdhsa_user_sgpr_count 6
		.amdhsa_user_sgpr_private_segment_buffer 1
		.amdhsa_user_sgpr_dispatch_ptr 0
		.amdhsa_user_sgpr_queue_ptr 0
		.amdhsa_user_sgpr_kernarg_segment_ptr 1
		.amdhsa_user_sgpr_dispatch_id 0
		.amdhsa_user_sgpr_flat_scratch_init 0
		.amdhsa_user_sgpr_kernarg_preload_length 0
		.amdhsa_user_sgpr_kernarg_preload_offset 0
		.amdhsa_user_sgpr_private_segment_size 0
		.amdhsa_uses_dynamic_stack 0
		.amdhsa_system_sgpr_private_segment_wavefront_offset 0
		.amdhsa_system_sgpr_workgroup_id_x 1
		.amdhsa_system_sgpr_workgroup_id_y 0
		.amdhsa_system_sgpr_workgroup_id_z 0
		.amdhsa_system_sgpr_workgroup_info 0
		.amdhsa_system_vgpr_workitem_id 0
		.amdhsa_next_free_vgpr 37
		.amdhsa_next_free_sgpr 68
		.amdhsa_accum_offset 40
		.amdhsa_reserve_vcc 1
		.amdhsa_reserve_flat_scratch 0
		.amdhsa_float_round_mode_32 0
		.amdhsa_float_round_mode_16_64 0
		.amdhsa_float_denorm_mode_32 3
		.amdhsa_float_denorm_mode_16_64 3
		.amdhsa_dx10_clamp 1
		.amdhsa_ieee_mode 1
		.amdhsa_fp16_overflow 0
		.amdhsa_tg_split 0
		.amdhsa_exception_fp_ieee_invalid_op 0
		.amdhsa_exception_fp_denorm_src 0
		.amdhsa_exception_fp_ieee_div_zero 0
		.amdhsa_exception_fp_ieee_overflow 0
		.amdhsa_exception_fp_ieee_underflow 0
		.amdhsa_exception_fp_ieee_inexact 0
		.amdhsa_exception_int_div_zero 0
	.end_amdhsa_kernel
	.section	.text._ZN7rocprim6detail18single_scan_kernelILb1ENS0_19wrapped_scan_configINS_14default_configEdEEPdS5_N4RAJA9operators4plusIdddEEddEEvT1_mT4_T2_T3_,"axG",@progbits,_ZN7rocprim6detail18single_scan_kernelILb1ENS0_19wrapped_scan_configINS_14default_configEdEEPdS5_N4RAJA9operators4plusIdddEEddEEvT1_mT4_T2_T3_,comdat
.Lfunc_end5:
	.size	_ZN7rocprim6detail18single_scan_kernelILb1ENS0_19wrapped_scan_configINS_14default_configEdEEPdS5_N4RAJA9operators4plusIdddEEddEEvT1_mT4_T2_T3_, .Lfunc_end5-_ZN7rocprim6detail18single_scan_kernelILb1ENS0_19wrapped_scan_configINS_14default_configEdEEPdS5_N4RAJA9operators4plusIdddEEddEEvT1_mT4_T2_T3_
                                        ; -- End function
	.section	.AMDGPU.csdata,"",@progbits
; Kernel info:
; codeLenInByte = 2156
; NumSgprs: 72
; NumVgprs: 37
; NumAgprs: 0
; TotalNumVgprs: 37
; ScratchSize: 0
; MemoryBound: 1
; FloatMode: 240
; IeeeMode: 1
; LDSByteSize: 10240 bytes/workgroup (compile time only)
; SGPRBlocks: 8
; VGPRBlocks: 4
; NumSGPRsForWavesPerEU: 72
; NumVGPRsForWavesPerEU: 37
; AccumOffset: 40
; Occupancy: 3
; WaveLimiterHint : 0
; COMPUTE_PGM_RSRC2:SCRATCH_EN: 0
; COMPUTE_PGM_RSRC2:USER_SGPR: 6
; COMPUTE_PGM_RSRC2:TRAP_HANDLER: 0
; COMPUTE_PGM_RSRC2:TGID_X_EN: 1
; COMPUTE_PGM_RSRC2:TGID_Y_EN: 0
; COMPUTE_PGM_RSRC2:TGID_Z_EN: 0
; COMPUTE_PGM_RSRC2:TIDIG_COMP_CNT: 0
; COMPUTE_PGM_RSRC3_GFX90A:ACCUM_OFFSET: 9
; COMPUTE_PGM_RSRC3_GFX90A:TG_SPLIT: 0
	.section	.text._ZN8rajaperf9algorithm11scan_customILm256ELm15EEEvPdS2_S2_S2_Pjl,"axG",@progbits,_ZN8rajaperf9algorithm11scan_customILm256ELm15EEEvPdS2_S2_S2_Pjl,comdat
	.protected	_ZN8rajaperf9algorithm11scan_customILm256ELm15EEEvPdS2_S2_S2_Pjl ; -- Begin function _ZN8rajaperf9algorithm11scan_customILm256ELm15EEEvPdS2_S2_S2_Pjl
	.globl	_ZN8rajaperf9algorithm11scan_customILm256ELm15EEEvPdS2_S2_S2_Pjl
	.p2align	8
	.type	_ZN8rajaperf9algorithm11scan_customILm256ELm15EEEvPdS2_S2_S2_Pjl,@function
_ZN8rajaperf9algorithm11scan_customILm256ELm15EEEvPdS2_S2_S2_Pjl: ; @_ZN8rajaperf9algorithm11scan_customILm256ELm15EEEvPdS2_S2_S2_Pjl
; %bb.0:
	s_load_dwordx8 s[40:47], s[4:5], 0x0
	s_load_dwordx4 s[48:51], s[4:5], 0x20
	s_mul_hi_i32 s0, s6, 0xf00
	s_mul_i32 s1, s6, 0xf00
	v_or_b32_e32 v30, s1, v0
	v_mov_b32_e32 v31, s0
	v_pk_mov_b32 v[2:3], 0, 0
	s_waitcnt lgkmcnt(0)
	v_cmp_gt_i64_e64 s[0:1], s[50:51], v[30:31]
	v_pk_mov_b32 v[4:5], v[2:3], v[2:3] op_sel:[0,1]
	s_and_saveexec_b64 s[2:3], s[0:1]
	s_cbranch_execz .LBB6_2
; %bb.1:
	v_lshlrev_b64 v[4:5], 3, v[30:31]
	v_mov_b32_e32 v1, s41
	v_add_co_u32_e32 v4, vcc, s40, v4
	v_addc_co_u32_e32 v5, vcc, v1, v5, vcc
	global_load_dwordx2 v[4:5], v[4:5], off
.LBB6_2:
	s_or_b64 exec, exec, s[2:3]
	v_add_co_u32_e32 v6, vcc, 0x100, v30
	v_addc_co_u32_e32 v7, vcc, 0, v31, vcc
	v_cmp_gt_i64_e64 s[2:3], s[50:51], v[6:7]
	s_and_saveexec_b64 s[8:9], s[2:3]
	s_cbranch_execz .LBB6_4
; %bb.3:
	v_lshlrev_b64 v[2:3], 3, v[30:31]
	v_mov_b32_e32 v1, s41
	v_add_co_u32_e32 v2, vcc, s40, v2
	v_addc_co_u32_e32 v3, vcc, v1, v3, vcc
	global_load_dwordx2 v[2:3], v[2:3], off offset:2048
.LBB6_4:
	s_or_b64 exec, exec, s[8:9]
	v_add_co_u32_e32 v32, vcc, 0x200, v30
	v_addc_co_u32_e32 v33, vcc, 0, v31, vcc
	v_pk_mov_b32 v[6:7], 0, 0
	v_cmp_gt_i64_e64 s[36:37], s[50:51], v[32:33]
	v_pk_mov_b32 v[8:9], v[6:7], v[6:7] op_sel:[0,1]
	s_and_saveexec_b64 s[8:9], s[36:37]
	s_cbranch_execz .LBB6_6
; %bb.5:
	v_lshlrev_b64 v[8:9], 3, v[32:33]
	v_mov_b32_e32 v1, s41
	v_add_co_u32_e32 v8, vcc, s40, v8
	v_addc_co_u32_e32 v9, vcc, v1, v9, vcc
	global_load_dwordx2 v[8:9], v[8:9], off
.LBB6_6:
	s_or_b64 exec, exec, s[8:9]
	v_add_co_u32_e32 v34, vcc, 0x300, v30
	v_addc_co_u32_e32 v35, vcc, 0, v31, vcc
	v_cmp_gt_i64_e64 s[30:31], s[50:51], v[34:35]
	s_and_saveexec_b64 s[8:9], s[30:31]
	s_cbranch_execz .LBB6_8
; %bb.7:
	v_lshlrev_b64 v[6:7], 3, v[34:35]
	v_mov_b32_e32 v1, s41
	v_add_co_u32_e32 v6, vcc, s40, v6
	v_addc_co_u32_e32 v7, vcc, v1, v7, vcc
	global_load_dwordx2 v[6:7], v[6:7], off
.LBB6_8:
	s_or_b64 exec, exec, s[8:9]
	v_add_co_u32_e32 v36, vcc, 0x400, v30
	v_addc_co_u32_e32 v37, vcc, 0, v31, vcc
	v_pk_mov_b32 v[10:11], 0, 0
	v_cmp_gt_i64_e64 s[8:9], s[50:51], v[36:37]
	v_pk_mov_b32 v[12:13], v[10:11], v[10:11] op_sel:[0,1]
	s_and_saveexec_b64 s[10:11], s[8:9]
	s_cbranch_execz .LBB6_10
; %bb.9:
	v_lshlrev_b64 v[12:13], 3, v[36:37]
	v_mov_b32_e32 v1, s41
	v_add_co_u32_e32 v12, vcc, s40, v12
	v_addc_co_u32_e32 v13, vcc, v1, v13, vcc
	global_load_dwordx2 v[12:13], v[12:13], off
.LBB6_10:
	s_or_b64 exec, exec, s[10:11]
	v_add_co_u32_e32 v38, vcc, 0x500, v30
	v_addc_co_u32_e32 v39, vcc, 0, v31, vcc
	v_cmp_gt_i64_e64 s[10:11], s[50:51], v[38:39]
	s_and_saveexec_b64 s[12:13], s[10:11]
	s_cbranch_execz .LBB6_12
; %bb.11:
	v_lshlrev_b64 v[10:11], 3, v[38:39]
	v_mov_b32_e32 v1, s41
	v_add_co_u32_e32 v10, vcc, s40, v10
	v_addc_co_u32_e32 v11, vcc, v1, v11, vcc
	global_load_dwordx2 v[10:11], v[10:11], off
.LBB6_12:
	;; [unrolled: 28-line block ×6, first 2 shown]
	s_or_b64 exec, exec, s[28:29]
	v_add_co_u32_e32 v56, vcc, 0xe00, v30
	v_addc_co_u32_e32 v57, vcc, 0, v31, vcc
	v_cmp_gt_i64_e64 s[28:29], s[50:51], v[56:57]
	v_pk_mov_b32 v[58:59], 0, 0
	s_and_saveexec_b64 s[34:35], s[28:29]
	s_cbranch_execz .LBB6_30
; %bb.29:
	v_lshlrev_b64 v[58:59], 3, v[56:57]
	v_mov_b32_e32 v1, s41
	v_add_co_u32_e32 v58, vcc, s40, v58
	v_addc_co_u32_e32 v59, vcc, v1, v59, vcc
	global_load_dwordx2 v[58:59], v[58:59], off
.LBB6_30:
	s_or_b64 exec, exec, s[34:35]
	s_load_dword s33, s[4:5], 0x30
	v_lshlrev_b32_e32 v69, 3, v0
	s_movk_i32 s4, 0x70
	v_mad_u32_u24 v1, v0, s4, v69
	s_waitcnt vmcnt(0)
	ds_write2st64_b64 v69, v[4:5], v[2:3] offset1:4
	ds_write2st64_b64 v69, v[8:9], v[6:7] offset0:8 offset1:12
	ds_write2st64_b64 v69, v[12:13], v[10:11] offset0:16 offset1:20
	;; [unrolled: 1-line block ×6, first 2 shown]
	ds_write_b64 v69, v[58:59] offset:28672
	s_waitcnt lgkmcnt(0)
	s_barrier
	ds_read2_b64 v[2:5], v1 offset1:1
	ds_read2_b64 v[6:9], v1 offset0:2 offset1:3
	ds_read2_b64 v[10:13], v1 offset0:4 offset1:5
	ds_read2_b64 v[14:17], v1 offset0:6 offset1:7
	ds_read2_b64 v[18:21], v1 offset0:8 offset1:9
	ds_read2_b64 v[22:25], v1 offset0:10 offset1:11
	ds_read2_b64 v[26:29], v1 offset0:12 offset1:13
	ds_read_b64 v[58:59], v1 offset:112
	s_waitcnt lgkmcnt(7)
	v_add_f64 v[60:61], v[2:3], v[4:5]
	s_waitcnt lgkmcnt(6)
	v_add_f64 v[60:61], v[60:61], v[6:7]
	v_add_f64 v[60:61], v[60:61], v[8:9]
	s_waitcnt lgkmcnt(5)
	v_add_f64 v[60:61], v[60:61], v[10:11]
	;; [unrolled: 3-line block ×6, first 2 shown]
	v_add_f64 v[60:61], v[60:61], v[28:29]
	v_mbcnt_lo_u32_b32 v62, -1, 0
	s_waitcnt lgkmcnt(0)
	v_add_f64 v[60:61], v[60:61], v[58:59]
	v_mbcnt_hi_u32_b32 v68, -1, v62
	v_and_b32_e32 v66, 15, v68
	v_mov_b32_dpp v62, v60 row_shr:1 row_mask:0xf bank_mask:0xf
	v_mov_b32_dpp v63, v61 row_shr:1 row_mask:0xf bank_mask:0xf
	v_add_f64 v[62:63], v[60:61], v[62:63]
	v_cmp_eq_u32_e32 vcc, 0, v66
	v_cndmask_b32_e32 v62, v62, v60, vcc
	v_cndmask_b32_e32 v63, v63, v61, vcc
	v_cmp_lt_u32_e32 vcc, 1, v66
	v_mov_b32_dpp v64, v62 row_shr:2 row_mask:0xf bank_mask:0xf
	v_mov_b32_dpp v65, v63 row_shr:2 row_mask:0xf bank_mask:0xf
	v_add_f64 v[64:65], v[62:63], v[64:65]
	v_cndmask_b32_e32 v62, v62, v64, vcc
	v_cndmask_b32_e32 v63, v63, v65, vcc
	v_cmp_lt_u32_e32 vcc, 3, v66
	v_mov_b32_dpp v64, v62 row_shr:4 row_mask:0xf bank_mask:0xf
	v_mov_b32_dpp v65, v63 row_shr:4 row_mask:0xf bank_mask:0xf
	v_add_f64 v[64:65], v[62:63], v[64:65]
	;; [unrolled: 6-line block ×3, first 2 shown]
	v_cndmask_b32_e32 v62, v62, v64, vcc
	v_cndmask_b32_e32 v63, v63, v65, vcc
	v_and_b32_e32 v70, 16, v68
	v_mov_b32_dpp v64, v62 row_bcast:15 row_mask:0xf bank_mask:0xf
	v_mov_b32_dpp v65, v63 row_bcast:15 row_mask:0xf bank_mask:0xf
	v_add_f64 v[66:67], v[62:63], v[64:65]
	v_cmp_eq_u32_e64 s[4:5], 0, v70
	v_cndmask_b32_e64 v65, v67, v63, s[4:5]
	v_cndmask_b32_e64 v64, v66, v62, s[4:5]
	v_cmp_eq_u32_e32 vcc, 0, v68
	v_mov_b32_dpp v65, v65 row_bcast:31 row_mask:0xf bank_mask:0xf
	v_mov_b32_dpp v64, v64 row_bcast:31 row_mask:0xf bank_mask:0xf
	v_cmp_ne_u32_e64 s[34:35], 0, v68
	s_barrier
	s_and_saveexec_b64 s[38:39], s[34:35]
	s_xor_b64 s[34:35], exec, s[38:39]
; %bb.31:
	v_cndmask_b32_e64 v61, v67, v63, s[4:5]
	v_cndmask_b32_e64 v60, v66, v62, s[4:5]
	v_add_f64 v[62:63], v[60:61], v[64:65]
	v_cmp_lt_u32_e64 s[4:5], 31, v68
	v_cndmask_b32_e64 v61, v61, v63, s[4:5]
	v_cndmask_b32_e64 v60, v60, v62, s[4:5]
; %bb.32:
	s_or_b64 exec, exec, s[34:35]
	v_or_b32_e32 v62, 63, v0
	s_ashr_i32 s7, s6, 31
	v_lshrrev_b32_e32 v64, 6, v0
	v_cmp_eq_u32_e64 s[4:5], v62, v0
	s_and_saveexec_b64 s[34:35], s[4:5]
	s_cbranch_execz .LBB6_34
; %bb.33:
	v_lshlrev_b32_e32 v62, 3, v64
	ds_write_b64 v62, v[60:61]
.LBB6_34:
	s_or_b64 exec, exec, s[34:35]
	v_cmp_gt_u32_e64 s[4:5], 4, v0
	s_waitcnt lgkmcnt(0)
	s_barrier
	s_and_saveexec_b64 s[34:35], s[4:5]
	s_cbranch_execz .LBB6_36
; %bb.35:
	ds_read_b64 v[62:63], v69
	v_and_b32_e32 v65, 3, v68
	v_cmp_eq_u32_e64 s[4:5], 0, v65
	s_waitcnt lgkmcnt(0)
	v_mov_b32_dpp v66, v62 row_shr:1 row_mask:0xf bank_mask:0xf
	v_mov_b32_dpp v67, v63 row_shr:1 row_mask:0xf bank_mask:0xf
	v_add_f64 v[66:67], v[62:63], v[66:67]
	v_cndmask_b32_e64 v63, v67, v63, s[4:5]
	v_cndmask_b32_e64 v62, v66, v62, s[4:5]
	v_cmp_lt_u32_e64 s[4:5], 1, v65
	v_mov_b32_dpp v67, v63 row_shr:2 row_mask:0xf bank_mask:0xf
	v_mov_b32_dpp v66, v62 row_shr:2 row_mask:0xf bank_mask:0xf
	v_add_f64 v[66:67], v[62:63], v[66:67]
	v_cndmask_b32_e64 v63, v63, v67, s[4:5]
	v_cndmask_b32_e64 v62, v62, v66, s[4:5]
	ds_write_b64 v69, v[62:63]
.LBB6_36:
	s_or_b64 exec, exec, s[34:35]
	v_cmp_lt_u32_e64 s[4:5], 63, v0
	v_pk_mov_b32 v[62:63], 0, 0
	s_waitcnt lgkmcnt(0)
	s_barrier
	s_and_saveexec_b64 s[34:35], s[4:5]
	s_cbranch_execz .LBB6_38
; %bb.37:
	v_lshl_add_u32 v62, v64, 3, -8
	ds_read_b64 v[62:63], v62
	s_waitcnt lgkmcnt(0)
	v_add_f64 v[62:63], v[62:63], 0
.LBB6_38:
	s_or_b64 exec, exec, s[34:35]
	v_add_u32_e32 v64, -1, v68
	v_and_b32_e32 v65, 64, v68
	v_cmp_lt_i32_e64 s[4:5], v64, v65
	v_cndmask_b32_e64 v64, v64, v68, s[4:5]
	v_add_f64 v[60:61], v[60:61], v[62:63]
	v_lshlrev_b32_e32 v64, 2, v64
	ds_bpermute_b32 v60, v64, v60
	ds_bpermute_b32 v61, v64, v61
	s_movk_i32 s4, 0xff
	v_cmp_eq_u32_e64 s[34:35], s4, v0
	s_movk_i32 s4, 0xff90
	s_waitcnt lgkmcnt(1)
	v_cndmask_b32_e32 v60, v60, v62, vcc
	s_waitcnt lgkmcnt(0)
	v_cndmask_b32_e32 v61, v61, v63, vcc
	v_cmp_ne_u32_e32 vcc, 0, v0
	v_cndmask_b32_e32 v61, 0, v61, vcc
	v_cndmask_b32_e32 v60, 0, v60, vcc
	v_add_f64 v[62:63], v[2:3], v[60:61]
	v_add_f64 v[64:65], v[4:5], v[62:63]
	;; [unrolled: 1-line block ×14, first 2 shown]
	s_barrier
	ds_write2_b64 v1, v[60:61], v[62:63] offset1:1
	ds_write2_b64 v1, v[64:65], v[66:67] offset0:2 offset1:3
	ds_write2_b64 v1, v[70:71], v[72:73] offset0:4 offset1:5
	;; [unrolled: 1-line block ×6, first 2 shown]
	ds_write_b64 v1, v[90:91] offset:112
	v_mad_i32_i24 v60, v0, s4, v1
	v_add_f64 v[92:93], v[58:59], v[90:91]
	s_waitcnt lgkmcnt(0)
	s_barrier
	ds_read_b64 v[58:59], v69
	ds_read2st64_b64 v[2:5], v60 offset0:4 offset1:8
	ds_read2st64_b64 v[6:9], v60 offset0:12 offset1:16
	;; [unrolled: 1-line block ×7, first 2 shown]
	s_add_i32 s33, s33, -1
	s_waitcnt lgkmcnt(0)
	s_barrier
	ds_write2_b64 v1, v[62:63], v[64:65] offset1:1
	ds_write2_b64 v1, v[66:67], v[70:71] offset0:2 offset1:3
	ds_write2_b64 v1, v[72:73], v[74:75] offset0:4 offset1:5
	;; [unrolled: 1-line block ×6, first 2 shown]
	ds_write_b64 v1, v[92:93] offset:112
	s_waitcnt lgkmcnt(0)
	s_barrier
	ds_read_b64 v[60:61], v60 offset:28672
	s_cmp_lg_u32 s33, s6
	s_cselect_b64 s[50:51], -1, 0
	s_and_b64 s[40:41], s[34:35], s[50:51]
	s_cmp_lg_u32 s6, 0
	s_waitcnt lgkmcnt(0)
	s_barrier
	s_cbranch_scc0 .LBB6_49
; %bb.39:
	s_and_saveexec_b64 s[4:5], s[40:41]
	s_cbranch_execz .LBB6_41
; %bb.40:
	s_lshl_b64 s[38:39], s[6:7], 3
	s_add_u32 s38, s44, s38
	s_addc_u32 s39, s45, s39
	s_lshl_b64 s[52:53], s[6:7], 2
	s_add_u32 s52, s48, s52
	v_mov_b32_e32 v1, 0
	s_addc_u32 s53, s49, s53
	v_mov_b32_e32 v62, 1
	global_store_dwordx2 v1, v[60:61], s[38:39]
	s_waitcnt vmcnt(0)
	buffer_wbinvl1_vol
	global_atomic_swap v1, v62, s[52:53]
.LBB6_41:
	s_or_b64 exec, exec, s[4:5]
	s_movk_i32 s4, 0xbf
	v_cmp_lt_u32_e32 vcc, s4, v0
	s_and_saveexec_b64 s[52:53], vcc
	s_cbranch_execz .LBB6_65
; %bb.42:
	s_sub_i32 s33, s6, 64
	v_and_b32_e32 v69, 63, v0
	s_cmp_lt_i32 s33, 0
	v_mov_b32_e32 v63, 0
	s_cbranch_scc1 .LBB6_51
; %bb.43:
	v_mov_b32_e32 v64, 11
	v_pk_mov_b32 v[0:1], 0, 0
	v_mov_b32_e32 v70, s49
	v_mov_b32_e32 v65, v64
	s_branch .LBB6_45
.LBB6_44:                               ;   in Loop: Header=BB6_45 Depth=1
	s_cmp_gt_i32 s33, -1
	s_cselect_b64 s[54:55], -1, 0
	s_and_b64 s[38:39], s[38:39], s[54:55]
	s_and_b64 vcc, exec, s[38:39]
	s_cbranch_vccz .LBB6_50
.LBB6_45:                               ; =>This Loop Header: Depth=1
                                        ;     Child Loop BB6_46 Depth 2
	v_add_u32_e32 v62, s33, v69
	v_lshlrev_b64 v[66:67], 2, v[62:63]
	v_add_co_u32_e32 v66, vcc, s48, v66
	v_addc_co_u32_e32 v67, vcc, v70, v67, vcc
.LBB6_46:                               ;   Parent Loop BB6_45 Depth=1
                                        ; =>  This Inner Loop Header: Depth=2
	global_atomic_cmpswap v71, v[66:67], v[64:65], off glc
	s_waitcnt vmcnt(0)
	v_cmp_ne_u32_e32 vcc, 0, v71
	s_cmp_lg_u64 vcc, -1
	s_cbranch_scc1 .LBB6_46
; %bb.47:                               ;   in Loop: Header=BB6_45 Depth=1
	v_cmp_eq_u32_e64 s[4:5], 2, v71
	s_cmp_eq_u64 s[4:5], 0
	s_cselect_b64 s[38:39], -1, 0
	s_mov_b64 vcc, s[4:5]
	s_cbranch_vccnz .LBB6_44
; %bb.48:                               ;   in Loop: Header=BB6_45 Depth=1
	v_lshlrev_b64 v[66:67], 3, v[62:63]
	v_mov_b32_e32 v62, s45
	v_add_co_u32_e32 v66, vcc, s44, v66
	v_addc_co_u32_e32 v67, vcc, v62, v67, vcc
	buffer_wbinvl1_vol
	global_load_dwordx2 v[66:67], v[66:67], off
	s_sub_i32 s33, s33, 64
	v_mov_b32_e32 v71, 0
	s_waitcnt vmcnt(0)
	v_add_f64 v[0:1], v[0:1], v[66:67]
	s_branch .LBB6_44
.LBB6_49:
                                        ; implicit-def: $vgpr0_vgpr1
                                        ; implicit-def: $vgpr62_vgpr63
                                        ; implicit-def: $vgpr64_vgpr65
                                        ; implicit-def: $vgpr66_vgpr67
                                        ; implicit-def: $vgpr68_vgpr69
                                        ; implicit-def: $vgpr70_vgpr71
                                        ; implicit-def: $vgpr72_vgpr73
                                        ; implicit-def: $vgpr74_vgpr75
                                        ; implicit-def: $vgpr76_vgpr77
                                        ; implicit-def: $vgpr78_vgpr79
                                        ; implicit-def: $vgpr80_vgpr81
                                        ; implicit-def: $vgpr82_vgpr83
                                        ; implicit-def: $vgpr84_vgpr85
                                        ; implicit-def: $vgpr86_vgpr87
                                        ; implicit-def: $vgpr88_vgpr89
	s_cbranch_execnz .LBB6_66
	s_branch .LBB6_69
.LBB6_50:
	s_mov_b64 s[38:39], 0
	v_mov_b32_e32 v63, v71
	s_branch .LBB6_52
.LBB6_51:
	s_mov_b64 s[38:39], -1
	s_mov_b64 s[4:5], 0
	v_pk_mov_b32 v[0:1], 0, 0
.LBB6_52:
	v_pk_mov_b32 v[66:67], s[38:39], s[38:39] op_sel:[0,1]
	v_cmp_gt_u64_e32 vcc, s[4:5], v[66:67]
	v_add_u32_e32 v64, s33, v69
	s_cbranch_vccnz .LBB6_57
; %bb.53:
	v_mov_b32_e32 v65, 0
	v_lshlrev_b64 v[66:67], 2, v[64:65]
	v_mov_b32_e32 v62, s49
	v_add_co_u32_e32 v66, vcc, s48, v66
	v_cmp_lt_i32_e64 s[38:39], -1, v64
	v_addc_co_u32_e32 v67, vcc, v62, v67, vcc
	v_mov_b32_e32 v62, 11
	s_branch .LBB6_55
.LBB6_54:                               ;   in Loop: Header=BB6_55 Depth=1
	s_or_b64 exec, exec, s[4:5]
	s_waitcnt vmcnt(0)
	v_cmp_ne_u32_e32 vcc, 0, v63
	s_not_b64 s[54:55], vcc
	v_cmp_eq_u32_e64 s[4:5], 2, v63
	v_pk_mov_b32 v[70:71], s[54:55], s[54:55] op_sel:[0,1]
	v_cmp_le_u64_e32 vcc, s[4:5], v[70:71]
	s_cbranch_vccz .LBB6_57
.LBB6_55:                               ; =>This Inner Loop Header: Depth=1
	s_and_saveexec_b64 s[4:5], s[38:39]
	s_cbranch_execz .LBB6_54
; %bb.56:                               ;   in Loop: Header=BB6_55 Depth=1
	v_mov_b32_e32 v63, v62
	global_atomic_cmpswap v63, v[66:67], v[62:63], off glc
	s_branch .LBB6_54
.LBB6_57:
	v_lshrrev_b64 v[62:63], v69, s[4:5]
	v_cmp_eq_u64_e64 s[38:39], 0, v[62:63]
	v_cmp_ne_u64_e32 vcc, 0, v[62:63]
	v_pk_mov_b32 v[62:63], s[44:45], s[44:45] op_sel:[0,1]
	s_waitcnt vmcnt(0)
	buffer_wbinvl1_vol
	s_and_saveexec_b64 s[54:55], vcc
; %bb.58:
	v_xor_b32_e32 v62, 63, v69
	v_lshrrev_b64 v[62:63], v62, -1
	v_cmp_le_u64_e32 vcc, s[4:5], v[62:63]
	s_andn2_b64 s[4:5], s[38:39], exec
	s_and_b64 s[38:39], vcc, exec
	v_pk_mov_b32 v[62:63], s[46:47], s[46:47] op_sel:[0,1]
	s_or_b64 s[38:39], s[4:5], s[38:39]
; %bb.59:
	s_or_b64 exec, exec, s[54:55]
	s_and_saveexec_b64 s[4:5], s[38:39]
	s_cbranch_execz .LBB6_61
; %bb.60:
	v_ashrrev_i32_e32 v65, 31, v64
	v_lshlrev_b64 v[64:65], 3, v[64:65]
	v_add_co_u32_e32 v62, vcc, v62, v64
	v_addc_co_u32_e32 v63, vcc, v63, v65, vcc
	global_load_dwordx2 v[62:63], v[62:63], off
	s_waitcnt vmcnt(0)
	v_add_f64 v[0:1], v[0:1], v[62:63]
.LBB6_61:
	s_or_b64 exec, exec, s[4:5]
	s_nop 0
	v_mov_b32_dpp v62, v0 quad_perm:[1,0,3,2] row_mask:0xf bank_mask:0xf
	v_mov_b32_dpp v63, v1 quad_perm:[1,0,3,2] row_mask:0xf bank_mask:0xf
	v_add_f64 v[0:1], v[0:1], v[62:63]
	s_nop 1
	v_mov_b32_dpp v62, v0 quad_perm:[2,3,0,1] row_mask:0xf bank_mask:0xf
	v_mov_b32_dpp v63, v1 quad_perm:[2,3,0,1] row_mask:0xf bank_mask:0xf
	v_add_f64 v[0:1], v[0:1], v[62:63]
	s_nop 1
	v_mov_b32_dpp v62, v0 row_ror:4 row_mask:0xf bank_mask:0xf
	v_mov_b32_dpp v63, v1 row_ror:4 row_mask:0xf bank_mask:0xf
	v_add_f64 v[0:1], v[0:1], v[62:63]
	s_nop 1
	v_mov_b32_dpp v62, v0 row_ror:8 row_mask:0xf bank_mask:0xf
	v_mov_b32_dpp v63, v1 row_ror:8 row_mask:0xf bank_mask:0xf
	v_add_f64 v[0:1], v[0:1], v[62:63]
	s_nop 1
	v_mov_b32_dpp v62, v0 row_bcast:15 row_mask:0xf bank_mask:0xf
	v_mov_b32_dpp v63, v1 row_bcast:15 row_mask:0xf bank_mask:0xf
	v_add_f64 v[0:1], v[0:1], v[62:63]
	s_nop 1
	v_mov_b32_dpp v62, v0 row_bcast:31 row_mask:0xf bank_mask:0xf
	v_mov_b32_dpp v63, v1 row_bcast:31 row_mask:0xf bank_mask:0xf
	v_add_f64 v[0:1], v[0:1], v[62:63]
	v_lshlrev_b32_e32 v62, 2, v68
	v_or_b32_e32 v63, 0xfc, v62
	ds_bpermute_b32 v0, v63, v0
	ds_bpermute_b32 v1, v63, v1
	v_and_b32_e32 v62, 0x100, v62
	s_waitcnt lgkmcnt(1)
	ds_bpermute_b32 v0, v62, v0
	s_waitcnt lgkmcnt(1)
	ds_bpermute_b32 v1, v62, v1
	s_and_b64 exec, exec, s[34:35]
	s_cbranch_execz .LBB6_65
; %bb.62:
	s_andn2_b64 vcc, exec, s[50:51]
	s_cbranch_vccnz .LBB6_64
; %bb.63:
	s_lshl_b64 s[4:5], s[6:7], 2
	s_add_u32 s4, s48, s4
	s_addc_u32 s5, s49, s5
	s_lshl_b64 s[6:7], s[6:7], 3
	s_add_u32 s6, s46, s6
	v_mov_b32_e32 v64, 0
	s_addc_u32 s7, s47, s7
	s_waitcnt lgkmcnt(0)
	v_add_f64 v[62:63], v[60:61], v[0:1]
	global_store_dwordx2 v64, v[62:63], s[6:7]
	v_mov_b32_e32 v62, 2
	s_waitcnt vmcnt(0)
	buffer_wbinvl1_vol
	global_atomic_swap v64, v62, s[4:5]
.LBB6_64:
	s_mov_b64 s[4:5], src_shared_base
	v_mov_b32_e32 v62, 0
	v_mov_b32_e32 v63, s5
	s_waitcnt lgkmcnt(0)
	flat_store_dwordx2 v[62:63], v[0:1]
	s_waitcnt vmcnt(0)
.LBB6_65:
	s_or_b64 exec, exec, s[52:53]
	s_mov_b64 s[4:5], src_shared_base
	s_waitcnt lgkmcnt(0)
	v_mov_b32_e32 v0, 0
	v_mov_b32_e32 v1, s5
	s_barrier
	flat_load_dwordx2 v[0:1], v[0:1] glc
	s_waitcnt vmcnt(0)
	s_waitcnt lgkmcnt(0)
	v_add_f64 v[88:89], v[58:59], v[0:1]
	v_add_f64 v[86:87], v[2:3], v[0:1]
	;; [unrolled: 1-line block ×15, first 2 shown]
	s_branch .LBB6_69
.LBB6_66:
	s_and_saveexec_b64 s[4:5], s[40:41]
	s_cbranch_execz .LBB6_68
; %bb.67:
	v_mov_b32_e32 v0, 0
	v_mov_b32_e32 v1, 2
	global_store_dwordx2 v0, v[60:61], s[44:45]
	global_store_dwordx2 v0, v[60:61], s[46:47]
	s_waitcnt vmcnt(0)
	buffer_wbinvl1_vol
	global_atomic_swap v0, v1, s[48:49]
.LBB6_68:
	s_or_b64 exec, exec, s[4:5]
	v_pk_mov_b32 v[88:89], v[58:59], v[58:59] op_sel:[0,1]
	v_pk_mov_b32 v[86:87], v[2:3], v[2:3] op_sel:[0,1]
	v_pk_mov_b32 v[84:85], v[4:5], v[4:5] op_sel:[0,1]
	v_pk_mov_b32 v[82:83], v[6:7], v[6:7] op_sel:[0,1]
	v_pk_mov_b32 v[80:81], v[8:9], v[8:9] op_sel:[0,1]
	v_pk_mov_b32 v[78:79], v[10:11], v[10:11] op_sel:[0,1]
	v_pk_mov_b32 v[76:77], v[12:13], v[12:13] op_sel:[0,1]
	v_pk_mov_b32 v[74:75], v[14:15], v[14:15] op_sel:[0,1]
	v_pk_mov_b32 v[72:73], v[16:17], v[16:17] op_sel:[0,1]
	v_pk_mov_b32 v[70:71], v[18:19], v[18:19] op_sel:[0,1]
	v_pk_mov_b32 v[68:69], v[20:21], v[20:21] op_sel:[0,1]
	v_pk_mov_b32 v[66:67], v[22:23], v[22:23] op_sel:[0,1]
	v_pk_mov_b32 v[64:65], v[24:25], v[24:25] op_sel:[0,1]
	v_pk_mov_b32 v[62:63], v[26:27], v[26:27] op_sel:[0,1]
	v_pk_mov_b32 v[0:1], v[28:29], v[28:29] op_sel:[0,1]
.LBB6_69:
	s_and_saveexec_b64 s[4:5], s[0:1]
	s_cbranch_execnz .LBB6_85
; %bb.70:
	s_or_b64 exec, exec, s[4:5]
	s_and_saveexec_b64 s[0:1], s[2:3]
	s_cbranch_execnz .LBB6_86
.LBB6_71:
	s_or_b64 exec, exec, s[0:1]
	s_and_saveexec_b64 s[0:1], s[36:37]
	s_cbranch_execnz .LBB6_87
.LBB6_72:
	s_or_b64 exec, exec, s[0:1]
	s_and_saveexec_b64 s[0:1], s[30:31]
	s_cbranch_execnz .LBB6_88
.LBB6_73:
	s_or_b64 exec, exec, s[0:1]
	s_and_saveexec_b64 s[0:1], s[8:9]
	s_cbranch_execnz .LBB6_89
.LBB6_74:
	s_or_b64 exec, exec, s[0:1]
	s_and_saveexec_b64 s[0:1], s[10:11]
	s_cbranch_execnz .LBB6_90
.LBB6_75:
	s_or_b64 exec, exec, s[0:1]
	s_and_saveexec_b64 s[0:1], s[12:13]
	s_cbranch_execnz .LBB6_91
.LBB6_76:
	s_or_b64 exec, exec, s[0:1]
	s_and_saveexec_b64 s[0:1], s[14:15]
	s_cbranch_execnz .LBB6_92
.LBB6_77:
	s_or_b64 exec, exec, s[0:1]
	s_and_saveexec_b64 s[0:1], s[16:17]
	s_cbranch_execnz .LBB6_93
.LBB6_78:
	s_or_b64 exec, exec, s[0:1]
	s_and_saveexec_b64 s[0:1], s[18:19]
	s_cbranch_execnz .LBB6_94
.LBB6_79:
	s_or_b64 exec, exec, s[0:1]
	s_and_saveexec_b64 s[0:1], s[20:21]
	s_cbranch_execnz .LBB6_95
.LBB6_80:
	s_or_b64 exec, exec, s[0:1]
	s_and_saveexec_b64 s[0:1], s[22:23]
	s_cbranch_execnz .LBB6_96
.LBB6_81:
	s_or_b64 exec, exec, s[0:1]
	s_and_saveexec_b64 s[0:1], s[24:25]
	s_cbranch_execnz .LBB6_97
.LBB6_82:
	s_or_b64 exec, exec, s[0:1]
	s_and_saveexec_b64 s[0:1], s[26:27]
	s_cbranch_execnz .LBB6_98
.LBB6_83:
	s_or_b64 exec, exec, s[0:1]
	s_and_saveexec_b64 s[0:1], s[28:29]
	s_cbranch_execnz .LBB6_99
.LBB6_84:
	s_endpgm
.LBB6_85:
	v_lshlrev_b64 v[2:3], 3, v[30:31]
	v_mov_b32_e32 v4, s43
	v_add_co_u32_e32 v2, vcc, s42, v2
	v_addc_co_u32_e32 v3, vcc, v4, v3, vcc
	global_store_dwordx2 v[2:3], v[88:89], off
	s_or_b64 exec, exec, s[4:5]
	s_and_saveexec_b64 s[0:1], s[2:3]
	s_cbranch_execz .LBB6_71
.LBB6_86:
	v_lshlrev_b64 v[2:3], 3, v[30:31]
	v_mov_b32_e32 v4, s43
	v_add_co_u32_e32 v2, vcc, s42, v2
	v_addc_co_u32_e32 v3, vcc, v4, v3, vcc
	global_store_dwordx2 v[2:3], v[86:87], off offset:2048
	s_or_b64 exec, exec, s[0:1]
	s_and_saveexec_b64 s[0:1], s[36:37]
	s_cbranch_execz .LBB6_72
.LBB6_87:
	v_lshlrev_b64 v[2:3], 3, v[32:33]
	v_mov_b32_e32 v4, s43
	v_add_co_u32_e32 v2, vcc, s42, v2
	v_addc_co_u32_e32 v3, vcc, v4, v3, vcc
	global_store_dwordx2 v[2:3], v[84:85], off
	s_or_b64 exec, exec, s[0:1]
	s_and_saveexec_b64 s[0:1], s[30:31]
	s_cbranch_execz .LBB6_73
.LBB6_88:
	v_lshlrev_b64 v[2:3], 3, v[34:35]
	v_mov_b32_e32 v4, s43
	v_add_co_u32_e32 v2, vcc, s42, v2
	v_addc_co_u32_e32 v3, vcc, v4, v3, vcc
	global_store_dwordx2 v[2:3], v[82:83], off
	s_or_b64 exec, exec, s[0:1]
	s_and_saveexec_b64 s[0:1], s[8:9]
	s_cbranch_execz .LBB6_74
.LBB6_89:
	v_lshlrev_b64 v[2:3], 3, v[36:37]
	v_mov_b32_e32 v4, s43
	v_add_co_u32_e32 v2, vcc, s42, v2
	v_addc_co_u32_e32 v3, vcc, v4, v3, vcc
	global_store_dwordx2 v[2:3], v[80:81], off
	s_or_b64 exec, exec, s[0:1]
	s_and_saveexec_b64 s[0:1], s[10:11]
	s_cbranch_execz .LBB6_75
.LBB6_90:
	v_lshlrev_b64 v[2:3], 3, v[38:39]
	v_mov_b32_e32 v4, s43
	v_add_co_u32_e32 v2, vcc, s42, v2
	v_addc_co_u32_e32 v3, vcc, v4, v3, vcc
	global_store_dwordx2 v[2:3], v[78:79], off
	s_or_b64 exec, exec, s[0:1]
	s_and_saveexec_b64 s[0:1], s[12:13]
	s_cbranch_execz .LBB6_76
.LBB6_91:
	v_lshlrev_b64 v[2:3], 3, v[40:41]
	v_mov_b32_e32 v4, s43
	v_add_co_u32_e32 v2, vcc, s42, v2
	v_addc_co_u32_e32 v3, vcc, v4, v3, vcc
	global_store_dwordx2 v[2:3], v[76:77], off
	s_or_b64 exec, exec, s[0:1]
	s_and_saveexec_b64 s[0:1], s[14:15]
	s_cbranch_execz .LBB6_77
.LBB6_92:
	v_lshlrev_b64 v[2:3], 3, v[42:43]
	v_mov_b32_e32 v4, s43
	v_add_co_u32_e32 v2, vcc, s42, v2
	v_addc_co_u32_e32 v3, vcc, v4, v3, vcc
	global_store_dwordx2 v[2:3], v[74:75], off
	s_or_b64 exec, exec, s[0:1]
	s_and_saveexec_b64 s[0:1], s[16:17]
	s_cbranch_execz .LBB6_78
.LBB6_93:
	v_lshlrev_b64 v[2:3], 3, v[44:45]
	v_mov_b32_e32 v4, s43
	v_add_co_u32_e32 v2, vcc, s42, v2
	v_addc_co_u32_e32 v3, vcc, v4, v3, vcc
	global_store_dwordx2 v[2:3], v[72:73], off
	s_or_b64 exec, exec, s[0:1]
	s_and_saveexec_b64 s[0:1], s[18:19]
	s_cbranch_execz .LBB6_79
.LBB6_94:
	v_lshlrev_b64 v[2:3], 3, v[46:47]
	v_mov_b32_e32 v4, s43
	v_add_co_u32_e32 v2, vcc, s42, v2
	v_addc_co_u32_e32 v3, vcc, v4, v3, vcc
	global_store_dwordx2 v[2:3], v[70:71], off
	s_or_b64 exec, exec, s[0:1]
	s_and_saveexec_b64 s[0:1], s[20:21]
	s_cbranch_execz .LBB6_80
.LBB6_95:
	v_lshlrev_b64 v[2:3], 3, v[48:49]
	v_mov_b32_e32 v4, s43
	v_add_co_u32_e32 v2, vcc, s42, v2
	v_addc_co_u32_e32 v3, vcc, v4, v3, vcc
	global_store_dwordx2 v[2:3], v[68:69], off
	s_or_b64 exec, exec, s[0:1]
	s_and_saveexec_b64 s[0:1], s[22:23]
	s_cbranch_execz .LBB6_81
.LBB6_96:
	v_lshlrev_b64 v[2:3], 3, v[50:51]
	v_mov_b32_e32 v4, s43
	v_add_co_u32_e32 v2, vcc, s42, v2
	v_addc_co_u32_e32 v3, vcc, v4, v3, vcc
	global_store_dwordx2 v[2:3], v[66:67], off
	s_or_b64 exec, exec, s[0:1]
	s_and_saveexec_b64 s[0:1], s[24:25]
	s_cbranch_execz .LBB6_82
.LBB6_97:
	v_lshlrev_b64 v[2:3], 3, v[52:53]
	v_mov_b32_e32 v4, s43
	v_add_co_u32_e32 v2, vcc, s42, v2
	v_addc_co_u32_e32 v3, vcc, v4, v3, vcc
	global_store_dwordx2 v[2:3], v[64:65], off
	s_or_b64 exec, exec, s[0:1]
	s_and_saveexec_b64 s[0:1], s[26:27]
	s_cbranch_execz .LBB6_83
.LBB6_98:
	v_lshlrev_b64 v[2:3], 3, v[54:55]
	v_mov_b32_e32 v4, s43
	v_add_co_u32_e32 v2, vcc, s42, v2
	v_addc_co_u32_e32 v3, vcc, v4, v3, vcc
	global_store_dwordx2 v[2:3], v[62:63], off
	s_or_b64 exec, exec, s[0:1]
	s_and_saveexec_b64 s[0:1], s[28:29]
	s_cbranch_execz .LBB6_84
.LBB6_99:
	v_lshlrev_b64 v[2:3], 3, v[56:57]
	v_mov_b32_e32 v4, s43
	v_add_co_u32_e32 v2, vcc, s42, v2
	v_addc_co_u32_e32 v3, vcc, v4, v3, vcc
	global_store_dwordx2 v[2:3], v[0:1], off
	s_endpgm
	.section	.rodata,"a",@progbits
	.p2align	6, 0x0
	.amdhsa_kernel _ZN8rajaperf9algorithm11scan_customILm256ELm15EEEvPdS2_S2_S2_Pjl
		.amdhsa_group_segment_fixed_size 30720
		.amdhsa_private_segment_fixed_size 0
		.amdhsa_kernarg_size 304
		.amdhsa_user_sgpr_count 6
		.amdhsa_user_sgpr_private_segment_buffer 1
		.amdhsa_user_sgpr_dispatch_ptr 0
		.amdhsa_user_sgpr_queue_ptr 0
		.amdhsa_user_sgpr_kernarg_segment_ptr 1
		.amdhsa_user_sgpr_dispatch_id 0
		.amdhsa_user_sgpr_flat_scratch_init 0
		.amdhsa_user_sgpr_kernarg_preload_length 0
		.amdhsa_user_sgpr_kernarg_preload_offset 0
		.amdhsa_user_sgpr_private_segment_size 0
		.amdhsa_uses_dynamic_stack 0
		.amdhsa_system_sgpr_private_segment_wavefront_offset 0
		.amdhsa_system_sgpr_workgroup_id_x 1
		.amdhsa_system_sgpr_workgroup_id_y 0
		.amdhsa_system_sgpr_workgroup_id_z 0
		.amdhsa_system_sgpr_workgroup_info 0
		.amdhsa_system_vgpr_workitem_id 0
		.amdhsa_next_free_vgpr 94
		.amdhsa_next_free_sgpr 56
		.amdhsa_accum_offset 96
		.amdhsa_reserve_vcc 1
		.amdhsa_reserve_flat_scratch 0
		.amdhsa_float_round_mode_32 0
		.amdhsa_float_round_mode_16_64 0
		.amdhsa_float_denorm_mode_32 3
		.amdhsa_float_denorm_mode_16_64 3
		.amdhsa_dx10_clamp 1
		.amdhsa_ieee_mode 1
		.amdhsa_fp16_overflow 0
		.amdhsa_tg_split 0
		.amdhsa_exception_fp_ieee_invalid_op 0
		.amdhsa_exception_fp_denorm_src 0
		.amdhsa_exception_fp_ieee_div_zero 0
		.amdhsa_exception_fp_ieee_overflow 0
		.amdhsa_exception_fp_ieee_underflow 0
		.amdhsa_exception_fp_ieee_inexact 0
		.amdhsa_exception_int_div_zero 0
	.end_amdhsa_kernel
	.section	.text._ZN8rajaperf9algorithm11scan_customILm256ELm15EEEvPdS2_S2_S2_Pjl,"axG",@progbits,_ZN8rajaperf9algorithm11scan_customILm256ELm15EEEvPdS2_S2_S2_Pjl,comdat
.Lfunc_end6:
	.size	_ZN8rajaperf9algorithm11scan_customILm256ELm15EEEvPdS2_S2_S2_Pjl, .Lfunc_end6-_ZN8rajaperf9algorithm11scan_customILm256ELm15EEEvPdS2_S2_S2_Pjl
                                        ; -- End function
	.section	.AMDGPU.csdata,"",@progbits
; Kernel info:
; codeLenInByte = 4440
; NumSgprs: 60
; NumVgprs: 94
; NumAgprs: 0
; TotalNumVgprs: 94
; ScratchSize: 0
; MemoryBound: 0
; FloatMode: 240
; IeeeMode: 1
; LDSByteSize: 30720 bytes/workgroup (compile time only)
; SGPRBlocks: 7
; VGPRBlocks: 11
; NumSGPRsForWavesPerEU: 60
; NumVGPRsForWavesPerEU: 94
; AccumOffset: 96
; Occupancy: 2
; WaveLimiterHint : 0
; COMPUTE_PGM_RSRC2:SCRATCH_EN: 0
; COMPUTE_PGM_RSRC2:USER_SGPR: 6
; COMPUTE_PGM_RSRC2:TRAP_HANDLER: 0
; COMPUTE_PGM_RSRC2:TGID_X_EN: 1
; COMPUTE_PGM_RSRC2:TGID_Y_EN: 0
; COMPUTE_PGM_RSRC2:TGID_Z_EN: 0
; COMPUTE_PGM_RSRC2:TIDIG_COMP_CNT: 0
; COMPUTE_PGM_RSRC3_GFX90A:ACCUM_OFFSET: 23
; COMPUTE_PGM_RSRC3_GFX90A:TG_SPLIT: 0
	.text
	.p2alignl 6, 3212836864
	.fill 256, 4, 3212836864
	.type	__hip_cuid_ab5b00b8812056a5,@object ; @__hip_cuid_ab5b00b8812056a5
	.section	.bss,"aw",@nobits
	.globl	__hip_cuid_ab5b00b8812056a5
__hip_cuid_ab5b00b8812056a5:
	.byte	0                               ; 0x0
	.size	__hip_cuid_ab5b00b8812056a5, 1

	.ident	"AMD clang version 19.0.0git (https://github.com/RadeonOpenCompute/llvm-project roc-6.4.0 25133 c7fe45cf4b819c5991fe208aaa96edf142730f1d)"
	.section	".note.GNU-stack","",@progbits
	.addrsig
	.addrsig_sym __hip_cuid_ab5b00b8812056a5
	.amdgpu_metadata
---
amdhsa.kernels:
  - .agpr_count:     0
    .args:
      - .address_space:  global
        .offset:         0
        .size:           8
        .value_kind:     global_buffer
      - .offset:         8
        .size:           4
        .value_kind:     by_value
      - .offset:         12
        .size:           4
        .value_kind:     by_value
      - .address_space:  global
        .offset:         16
        .size:           8
        .value_kind:     global_buffer
      - .offset:         24
        .size:           4
        .value_kind:     hidden_block_count_x
      - .offset:         28
        .size:           4
        .value_kind:     hidden_block_count_y
      - .offset:         32
        .size:           4
        .value_kind:     hidden_block_count_z
      - .offset:         36
        .size:           2
        .value_kind:     hidden_group_size_x
      - .offset:         38
        .size:           2
        .value_kind:     hidden_group_size_y
      - .offset:         40
        .size:           2
        .value_kind:     hidden_group_size_z
      - .offset:         42
        .size:           2
        .value_kind:     hidden_remainder_x
      - .offset:         44
        .size:           2
        .value_kind:     hidden_remainder_y
      - .offset:         46
        .size:           2
        .value_kind:     hidden_remainder_z
      - .offset:         64
        .size:           8
        .value_kind:     hidden_global_offset_x
      - .offset:         72
        .size:           8
        .value_kind:     hidden_global_offset_y
      - .offset:         80
        .size:           8
        .value_kind:     hidden_global_offset_z
      - .offset:         88
        .size:           2
        .value_kind:     hidden_grid_dims
    .group_segment_fixed_size: 0
    .kernarg_segment_align: 8
    .kernarg_segment_size: 280
    .language:       OpenCL C
    .language_version:
      - 2
      - 0
    .max_flat_workgroup_size: 256
    .name:           _ZN7rocprim6detail31init_lookback_scan_state_kernelINS0_19lookback_scan_stateIdLb1ELb1EEEEEvT_jjPNS4_10value_typeE
    .private_segment_fixed_size: 0
    .sgpr_count:     18
    .sgpr_spill_count: 0
    .symbol:         _ZN7rocprim6detail31init_lookback_scan_state_kernelINS0_19lookback_scan_stateIdLb1ELb1EEEEEvT_jjPNS4_10value_typeE.kd
    .uniform_work_group_size: 1
    .uses_dynamic_stack: false
    .vgpr_count:     10
    .vgpr_spill_count: 0
    .wavefront_size: 64
  - .agpr_count:     0
    .args:
      - .address_space:  global
        .offset:         0
        .size:           8
        .value_kind:     global_buffer
      - .offset:         8
        .size:           4
        .value_kind:     by_value
      - .offset:         12
        .size:           4
        .value_kind:     by_value
      - .address_space:  global
        .offset:         16
        .size:           8
        .value_kind:     global_buffer
      - .offset:         24
        .size:           4
        .value_kind:     hidden_block_count_x
      - .offset:         28
        .size:           4
        .value_kind:     hidden_block_count_y
      - .offset:         32
        .size:           4
        .value_kind:     hidden_block_count_z
      - .offset:         36
        .size:           2
        .value_kind:     hidden_group_size_x
      - .offset:         38
        .size:           2
        .value_kind:     hidden_group_size_y
      - .offset:         40
        .size:           2
        .value_kind:     hidden_group_size_z
      - .offset:         42
        .size:           2
        .value_kind:     hidden_remainder_x
      - .offset:         44
        .size:           2
        .value_kind:     hidden_remainder_y
      - .offset:         46
        .size:           2
        .value_kind:     hidden_remainder_z
      - .offset:         64
        .size:           8
        .value_kind:     hidden_global_offset_x
      - .offset:         72
        .size:           8
        .value_kind:     hidden_global_offset_y
      - .offset:         80
        .size:           8
        .value_kind:     hidden_global_offset_z
      - .offset:         88
        .size:           2
        .value_kind:     hidden_grid_dims
    .group_segment_fixed_size: 0
    .kernarg_segment_align: 8
    .kernarg_segment_size: 280
    .language:       OpenCL C
    .language_version:
      - 2
      - 0
    .max_flat_workgroup_size: 256
    .name:           _ZN7rocprim6detail31init_lookback_scan_state_kernelINS0_19lookback_scan_stateIdLb0ELb1EEEEEvT_jjPNS4_10value_typeE
    .private_segment_fixed_size: 0
    .sgpr_count:     18
    .sgpr_spill_count: 0
    .symbol:         _ZN7rocprim6detail31init_lookback_scan_state_kernelINS0_19lookback_scan_stateIdLb0ELb1EEEEEvT_jjPNS4_10value_typeE.kd
    .uniform_work_group_size: 1
    .uses_dynamic_stack: false
    .vgpr_count:     10
    .vgpr_spill_count: 0
    .wavefront_size: 64
  - .agpr_count:     0
    .args:
      - .address_space:  global
        .offset:         0
        .size:           8
        .value_kind:     global_buffer
      - .address_space:  global
        .offset:         8
        .size:           8
        .value_kind:     global_buffer
      - .offset:         16
        .size:           8
        .value_kind:     by_value
      - .offset:         24
        .size:           8
        .value_kind:     by_value
      - .offset:         32
        .size:           1
        .value_kind:     by_value
      - .address_space:  global
        .offset:         40
        .size:           8
        .value_kind:     global_buffer
      - .offset:         48
        .size:           4
        .value_kind:     by_value
      - .address_space:  global
        .offset:         56
        .size:           8
        .value_kind:     global_buffer
      - .address_space:  global
        .offset:         64
        .size:           8
        .value_kind:     global_buffer
      - .offset:         72
        .size:           1
        .value_kind:     by_value
      - .offset:         73
        .size:           1
        .value_kind:     by_value
    .group_segment_fixed_size: 0
    .kernarg_segment_align: 8
    .kernarg_segment_size: 76
    .language:       OpenCL C
    .language_version:
      - 2
      - 0
    .max_flat_workgroup_size: 128
    .name:           _ZN7rocprim6detail20lookback_scan_kernelILNS0_25lookback_scan_determinismE0ELb1ENS0_19wrapped_scan_configINS_14default_configEdEEPdS6_N4RAJA9operators4plusIdddEEddNS0_19lookback_scan_stateIdLb1ELb1EEEEEvT2_T3_mT5_T4_T7_jPT6_SJ_bb
    .private_segment_fixed_size: 0
    .sgpr_count:     4
    .sgpr_spill_count: 0
    .symbol:         _ZN7rocprim6detail20lookback_scan_kernelILNS0_25lookback_scan_determinismE0ELb1ENS0_19wrapped_scan_configINS_14default_configEdEEPdS6_N4RAJA9operators4plusIdddEEddNS0_19lookback_scan_stateIdLb1ELb1EEEEEvT2_T3_mT5_T4_T7_jPT6_SJ_bb.kd
    .uniform_work_group_size: 1
    .uses_dynamic_stack: false
    .vgpr_count:     0
    .vgpr_spill_count: 0
    .wavefront_size: 64
  - .agpr_count:     0
    .args:
      - .address_space:  global
        .offset:         0
        .size:           8
        .value_kind:     global_buffer
      - .address_space:  global
        .offset:         8
        .size:           8
        .value_kind:     global_buffer
      - .offset:         16
        .size:           8
        .value_kind:     by_value
      - .offset:         24
        .size:           8
        .value_kind:     by_value
      - .offset:         32
        .size:           1
        .value_kind:     by_value
      - .address_space:  global
        .offset:         40
        .size:           8
        .value_kind:     global_buffer
      - .offset:         48
        .size:           4
        .value_kind:     by_value
      - .address_space:  global
        .offset:         56
        .size:           8
        .value_kind:     global_buffer
      - .address_space:  global
        .offset:         64
        .size:           8
        .value_kind:     global_buffer
      - .offset:         72
        .size:           1
        .value_kind:     by_value
      - .offset:         73
        .size:           1
        .value_kind:     by_value
    .group_segment_fixed_size: 10240
    .kernarg_segment_align: 8
    .kernarg_segment_size: 76
    .language:       OpenCL C
    .language_version:
      - 2
      - 0
    .max_flat_workgroup_size: 128
    .name:           _ZN7rocprim6detail20lookback_scan_kernelILNS0_25lookback_scan_determinismE0ELb1ENS0_19wrapped_scan_configINS_14default_configEdEEPdS6_N4RAJA9operators4plusIdddEEddNS0_19lookback_scan_stateIdLb0ELb1EEEEEvT2_T3_mT5_T4_T7_jPT6_SJ_bb
    .private_segment_fixed_size: 0
    .sgpr_count:     72
    .sgpr_spill_count: 0
    .symbol:         _ZN7rocprim6detail20lookback_scan_kernelILNS0_25lookback_scan_determinismE0ELb1ENS0_19wrapped_scan_configINS_14default_configEdEEPdS6_N4RAJA9operators4plusIdddEEddNS0_19lookback_scan_stateIdLb0ELb1EEEEEvT2_T3_mT5_T4_T7_jPT6_SJ_bb.kd
    .uniform_work_group_size: 1
    .uses_dynamic_stack: false
    .vgpr_count:     59
    .vgpr_spill_count: 0
    .wavefront_size: 64
  - .agpr_count:     0
    .args:
      - .address_space:  global
        .offset:         0
        .size:           8
        .value_kind:     global_buffer
      - .offset:         8
        .size:           8
        .value_kind:     by_value
      - .address_space:  global
        .offset:         16
        .size:           8
        .value_kind:     global_buffer
      - .offset:         24
        .size:           1
        .value_kind:     by_value
      - .offset:         32
        .size:           4
        .value_kind:     hidden_block_count_x
      - .offset:         36
        .size:           4
        .value_kind:     hidden_block_count_y
      - .offset:         40
        .size:           4
        .value_kind:     hidden_block_count_z
      - .offset:         44
        .size:           2
        .value_kind:     hidden_group_size_x
      - .offset:         46
        .size:           2
        .value_kind:     hidden_group_size_y
      - .offset:         48
        .size:           2
        .value_kind:     hidden_group_size_z
      - .offset:         50
        .size:           2
        .value_kind:     hidden_remainder_x
      - .offset:         52
        .size:           2
        .value_kind:     hidden_remainder_y
      - .offset:         54
        .size:           2
        .value_kind:     hidden_remainder_z
      - .offset:         72
        .size:           8
        .value_kind:     hidden_global_offset_x
      - .offset:         80
        .size:           8
        .value_kind:     hidden_global_offset_y
      - .offset:         88
        .size:           8
        .value_kind:     hidden_global_offset_z
      - .offset:         96
        .size:           2
        .value_kind:     hidden_grid_dims
    .group_segment_fixed_size: 0
    .kernarg_segment_align: 8
    .kernarg_segment_size: 288
    .language:       OpenCL C
    .language_version:
      - 2
      - 0
    .max_flat_workgroup_size: 256
    .name:           _ZN7rocprim6detail16transform_kernelINS0_24wrapped_transform_configINS_14default_configEdEEdPdS5_NS_8identityIdEEEEvT1_mT2_T3_
    .private_segment_fixed_size: 0
    .sgpr_count:     16
    .sgpr_spill_count: 0
    .symbol:         _ZN7rocprim6detail16transform_kernelINS0_24wrapped_transform_configINS_14default_configEdEEdPdS5_NS_8identityIdEEEEvT1_mT2_T3_.kd
    .uniform_work_group_size: 1
    .uses_dynamic_stack: false
    .vgpr_count:     8
    .vgpr_spill_count: 0
    .wavefront_size: 64
  - .agpr_count:     0
    .args:
      - .address_space:  global
        .offset:         0
        .size:           8
        .value_kind:     global_buffer
      - .offset:         8
        .size:           8
        .value_kind:     by_value
      - .offset:         16
        .size:           8
        .value_kind:     by_value
      - .address_space:  global
        .offset:         24
        .size:           8
        .value_kind:     global_buffer
      - .offset:         32
        .size:           1
        .value_kind:     by_value
    .group_segment_fixed_size: 10240
    .kernarg_segment_align: 8
    .kernarg_segment_size: 36
    .language:       OpenCL C
    .language_version:
      - 2
      - 0
    .max_flat_workgroup_size: 128
    .name:           _ZN7rocprim6detail18single_scan_kernelILb1ENS0_19wrapped_scan_configINS_14default_configEdEEPdS5_N4RAJA9operators4plusIdddEEddEEvT1_mT4_T2_T3_
    .private_segment_fixed_size: 0
    .sgpr_count:     72
    .sgpr_spill_count: 0
    .symbol:         _ZN7rocprim6detail18single_scan_kernelILb1ENS0_19wrapped_scan_configINS_14default_configEdEEPdS5_N4RAJA9operators4plusIdddEEddEEvT1_mT4_T2_T3_.kd
    .uniform_work_group_size: 1
    .uses_dynamic_stack: false
    .vgpr_count:     37
    .vgpr_spill_count: 0
    .wavefront_size: 64
  - .agpr_count:     0
    .args:
      - .address_space:  global
        .offset:         0
        .size:           8
        .value_kind:     global_buffer
      - .address_space:  global
        .offset:         8
        .size:           8
        .value_kind:     global_buffer
      - .address_space:  global
        .offset:         16
        .size:           8
        .value_kind:     global_buffer
      - .address_space:  global
        .offset:         24
        .size:           8
        .value_kind:     global_buffer
      - .address_space:  global
        .offset:         32
        .size:           8
        .value_kind:     global_buffer
      - .offset:         40
        .size:           8
        .value_kind:     by_value
      - .offset:         48
        .size:           4
        .value_kind:     hidden_block_count_x
      - .offset:         52
        .size:           4
        .value_kind:     hidden_block_count_y
      - .offset:         56
        .size:           4
        .value_kind:     hidden_block_count_z
      - .offset:         60
        .size:           2
        .value_kind:     hidden_group_size_x
      - .offset:         62
        .size:           2
        .value_kind:     hidden_group_size_y
      - .offset:         64
        .size:           2
        .value_kind:     hidden_group_size_z
      - .offset:         66
        .size:           2
        .value_kind:     hidden_remainder_x
      - .offset:         68
        .size:           2
        .value_kind:     hidden_remainder_y
      - .offset:         70
        .size:           2
        .value_kind:     hidden_remainder_z
      - .offset:         88
        .size:           8
        .value_kind:     hidden_global_offset_x
      - .offset:         96
        .size:           8
        .value_kind:     hidden_global_offset_y
      - .offset:         104
        .size:           8
        .value_kind:     hidden_global_offset_z
      - .offset:         112
        .size:           2
        .value_kind:     hidden_grid_dims
    .group_segment_fixed_size: 30720
    .kernarg_segment_align: 8
    .kernarg_segment_size: 304
    .language:       OpenCL C
    .language_version:
      - 2
      - 0
    .max_flat_workgroup_size: 256
    .name:           _ZN8rajaperf9algorithm11scan_customILm256ELm15EEEvPdS2_S2_S2_Pjl
    .private_segment_fixed_size: 0
    .sgpr_count:     60
    .sgpr_spill_count: 0
    .symbol:         _ZN8rajaperf9algorithm11scan_customILm256ELm15EEEvPdS2_S2_S2_Pjl.kd
    .uniform_work_group_size: 1
    .uses_dynamic_stack: false
    .vgpr_count:     94
    .vgpr_spill_count: 0
    .wavefront_size: 64
amdhsa.target:   amdgcn-amd-amdhsa--gfx90a
amdhsa.version:
  - 1
  - 2
...

	.end_amdgpu_metadata
